;; amdgpu-corpus repo=zjin-lcf/HeCBench kind=compiled arch=gfx90a opt=O3
	.text
	.amdgcn_target "amdgcn-amd-amdhsa--gfx90a"
	.amdhsa_code_object_version 6
	.protected	_Z17check_correctnessP6__halfS0_S0_i ; -- Begin function _Z17check_correctnessP6__halfS0_S0_i
	.globl	_Z17check_correctnessP6__halfS0_S0_i
	.p2align	8
	.type	_Z17check_correctnessP6__halfS0_S0_i,@function
_Z17check_correctnessP6__halfS0_S0_i:   ; @_Z17check_correctnessP6__halfS0_S0_i
; %bb.0:
	s_load_dword s0, s[4:5], 0x2c
	s_load_dword s10, s[4:5], 0x18
	s_add_u32 s8, s4, 32
	s_addc_u32 s9, s5, 0
	s_waitcnt lgkmcnt(0)
	s_and_b32 s0, s0, 0xffff
	s_mul_i32 s6, s6, s0
	v_add_u32_e32 v28, s6, v0
	v_cmp_gt_i32_e32 vcc, s10, v28
	s_and_saveexec_b64 s[0:1], vcc
	s_cbranch_execz .LBB0_243
; %bb.1:
	s_load_dwordx4 s[0:3], s[4:5], 0x0
	s_load_dwordx2 s[6:7], s[4:5], 0x10
	s_cmp_lt_i32 s10, 1
	s_cbranch_scc1 .LBB0_4
; %bb.2:
	v_mul_lo_u32 v0, v28, s10
	v_ashrrev_i32_e32 v1, 31, v0
	v_lshlrev_b64 v[0:1], 1, v[0:1]
	s_waitcnt lgkmcnt(0)
	v_mov_b32_e32 v2, s1
	v_add_co_u32_e32 v0, vcc, s0, v0
	v_addc_co_u32_e32 v1, vcc, v2, v1, vcc
	v_mov_b32_e32 v2, 0
	s_mov_b32 s0, s10
	v_mov_b32_e32 v37, 0
.LBB0_3:                                ; =>This Inner Loop Header: Depth=1
	global_load_ushort v3, v[0:1], off
	global_load_ushort v4, v2, s[2:3]
	s_add_i32 s0, s0, -1
	s_add_u32 s2, s2, 2
	v_add_co_u32_e32 v0, vcc, 2, v0
	s_addc_u32 s3, s3, 0
	v_addc_co_u32_e32 v1, vcc, 0, v1, vcc
	s_cmp_eq_u32 s0, 0
	s_waitcnt vmcnt(0)
	v_fma_mix_f32 v37, v3, v4, v37 op_sel_hi:[1,1,0]
	s_cbranch_scc0 .LBB0_3
	s_branch .LBB0_5
.LBB0_4:
	v_mov_b32_e32 v37, 0
.LBB0_5:
	v_ashrrev_i32_e32 v29, 31, v28
	v_lshlrev_b64 v[0:1], 1, v[28:29]
	s_waitcnt lgkmcnt(0)
	v_mov_b32_e32 v2, s7
	v_add_co_u32_e32 v0, vcc, s6, v0
	v_addc_co_u32_e32 v1, vcc, v2, v1, vcc
	global_load_ushort v2, v[0:1], off
	v_cvt_f64_i32_e32 v[0:1], s10
	v_ldexp_f64 v[0:1], v[0:1], -3
	v_ldexp_f64 v[0:1], v[0:1], -9
	v_cvt_f32_f64_e32 v0, v[0:1]
	s_waitcnt vmcnt(0)
	v_cvt_f32_f16_e32 v38, v2
	v_sub_f32_e32 v29, v37, v38
	v_cmp_gt_f32_e32 vcc, v29, v0
	v_cmp_lt_f32_e64 s[0:1], v29, -v0
	s_or_b64 s[0:1], vcc, s[0:1]
	s_and_b64 exec, exec, s[0:1]
	s_cbranch_execz .LBB0_243
; %bb.6:
	s_load_dwordx2 s[2:3], s[8:9], 0x50
	v_mbcnt_lo_u32_b32 v0, -1, 0
	v_mbcnt_hi_u32_b32 v36, -1, v0
	v_readfirstlane_b32 s0, v36
	v_cmp_eq_u32_e64 s[0:1], s0, v36
	v_pk_mov_b32 v[6:7], 0, 0
	s_and_saveexec_b64 s[4:5], s[0:1]
	s_cbranch_execz .LBB0_12
; %bb.7:
	v_mov_b32_e32 v0, 0
	s_waitcnt lgkmcnt(0)
	global_load_dwordx2 v[4:5], v0, s[2:3] offset:24 glc
	s_waitcnt vmcnt(0)
	buffer_invl2
	buffer_wbinvl1_vol
	global_load_dwordx2 v[2:3], v0, s[2:3] offset:40
	global_load_dwordx2 v[6:7], v0, s[2:3]
	s_waitcnt vmcnt(1)
	v_and_b32_e32 v1, v2, v4
	v_and_b32_e32 v2, v3, v5
	v_mul_lo_u32 v2, v2, 24
	v_mul_hi_u32 v3, v1, 24
	v_mul_lo_u32 v1, v1, 24
	v_add_u32_e32 v3, v3, v2
	s_waitcnt vmcnt(0)
	v_add_co_u32_e32 v2, vcc, v6, v1
	v_addc_co_u32_e32 v3, vcc, v7, v3, vcc
	global_load_dwordx2 v[2:3], v[2:3], off glc
	s_waitcnt vmcnt(0)
	global_atomic_cmpswap_x2 v[6:7], v0, v[2:5], s[2:3] offset:24 glc
	s_waitcnt vmcnt(0)
	buffer_invl2
	buffer_wbinvl1_vol
	v_cmp_ne_u64_e32 vcc, v[6:7], v[4:5]
	s_and_saveexec_b64 s[6:7], vcc
	s_cbranch_execz .LBB0_11
; %bb.8:
	s_mov_b64 s[8:9], 0
.LBB0_9:                                ; =>This Inner Loop Header: Depth=1
	s_sleep 1
	global_load_dwordx2 v[2:3], v0, s[2:3] offset:40
	global_load_dwordx2 v[8:9], v0, s[2:3]
	v_pk_mov_b32 v[4:5], v[6:7], v[6:7] op_sel:[0,1]
	s_waitcnt vmcnt(1)
	v_and_b32_e32 v2, v2, v4
	v_and_b32_e32 v1, v3, v5
	s_waitcnt vmcnt(0)
	v_mad_u64_u32 v[2:3], s[10:11], v2, 24, v[8:9]
	v_mov_b32_e32 v6, v3
	v_mad_u64_u32 v[6:7], s[10:11], v1, 24, v[6:7]
	v_mov_b32_e32 v3, v6
	global_load_dwordx2 v[2:3], v[2:3], off glc
	s_waitcnt vmcnt(0)
	global_atomic_cmpswap_x2 v[6:7], v0, v[2:5], s[2:3] offset:24 glc
	s_waitcnt vmcnt(0)
	buffer_invl2
	buffer_wbinvl1_vol
	v_cmp_eq_u64_e32 vcc, v[6:7], v[4:5]
	s_or_b64 s[8:9], vcc, s[8:9]
	s_andn2_b64 exec, exec, s[8:9]
	s_cbranch_execnz .LBB0_9
; %bb.10:
	s_or_b64 exec, exec, s[8:9]
.LBB0_11:
	s_or_b64 exec, exec, s[6:7]
.LBB0_12:
	s_or_b64 exec, exec, s[4:5]
	v_mov_b32_e32 v5, 0
	s_waitcnt lgkmcnt(0)
	global_load_dwordx2 v[8:9], v5, s[2:3] offset:40
	global_load_dwordx4 v[0:3], v5, s[2:3]
	v_readfirstlane_b32 s4, v6
	v_readfirstlane_b32 s5, v7
	s_mov_b64 s[6:7], exec
	s_waitcnt vmcnt(1)
	v_readfirstlane_b32 s8, v8
	v_readfirstlane_b32 s9, v9
	s_and_b64 s[8:9], s[4:5], s[8:9]
	s_mul_i32 s10, s9, 24
	s_mul_hi_u32 s11, s8, 24
	s_mul_i32 s12, s8, 24
	s_add_i32 s10, s11, s10
	v_mov_b32_e32 v4, s10
	s_waitcnt vmcnt(0)
	v_add_co_u32_e32 v8, vcc, s12, v0
	v_addc_co_u32_e32 v9, vcc, v1, v4, vcc
	s_and_saveexec_b64 s[10:11], s[0:1]
	s_cbranch_execz .LBB0_14
; %bb.13:
	v_pk_mov_b32 v[10:11], s[6:7], s[6:7] op_sel:[0,1]
	v_mov_b32_e32 v12, 2
	v_mov_b32_e32 v13, 1
	global_store_dwordx4 v[8:9], v[10:13], off offset:8
.LBB0_14:
	s_or_b64 exec, exec, s[10:11]
	s_lshl_b64 s[6:7], s[8:9], 12
	v_mov_b32_e32 v4, s7
	v_add_co_u32_e32 v2, vcc, s6, v2
	v_addc_co_u32_e32 v3, vcc, v3, v4, vcc
	s_mov_b32 s8, 0
	v_lshlrev_b32_e32 v31, 6, v36
	v_add_co_u32_e32 v10, vcc, v2, v31
	v_mov_b32_e32 v4, 33
	v_mov_b32_e32 v6, v5
	;; [unrolled: 1-line block ×3, first 2 shown]
	v_readfirstlane_b32 s6, v2
	v_readfirstlane_b32 s7, v3
	s_mov_b32 s9, s8
	v_addc_co_u32_e32 v11, vcc, 0, v3, vcc
	s_mov_b32 s10, s8
	s_mov_b32 s11, s8
	s_nop 0
	global_store_dwordx4 v31, v[4:7], s[6:7]
	v_pk_mov_b32 v[2:3], s[8:9], s[8:9] op_sel:[0,1]
	v_pk_mov_b32 v[4:5], s[10:11], s[10:11] op_sel:[0,1]
	global_store_dwordx4 v31, v[2:5], s[6:7] offset:16
	global_store_dwordx4 v31, v[2:5], s[6:7] offset:32
	;; [unrolled: 1-line block ×3, first 2 shown]
	s_and_saveexec_b64 s[6:7], s[0:1]
	s_cbranch_execz .LBB0_22
; %bb.15:
	v_mov_b32_e32 v6, 0
	global_load_dwordx2 v[14:15], v6, s[2:3] offset:32 glc
	global_load_dwordx2 v[2:3], v6, s[2:3] offset:40
	v_mov_b32_e32 v12, s4
	v_mov_b32_e32 v13, s5
	s_waitcnt vmcnt(0)
	v_and_b32_e32 v2, s4, v2
	v_and_b32_e32 v3, s5, v3
	v_mul_lo_u32 v3, v3, 24
	v_mul_hi_u32 v4, v2, 24
	v_mul_lo_u32 v2, v2, 24
	v_add_u32_e32 v3, v4, v3
	v_add_co_u32_e32 v4, vcc, v0, v2
	v_addc_co_u32_e32 v5, vcc, v1, v3, vcc
	global_store_dwordx2 v[4:5], v[14:15], off
	buffer_wbl2
	s_waitcnt vmcnt(0)
	global_atomic_cmpswap_x2 v[2:3], v6, v[12:15], s[2:3] offset:32 glc
	s_waitcnt vmcnt(0)
	v_cmp_ne_u64_e32 vcc, v[2:3], v[14:15]
	s_and_saveexec_b64 s[8:9], vcc
	s_cbranch_execz .LBB0_18
; %bb.16:
	s_mov_b64 s[10:11], 0
.LBB0_17:                               ; =>This Inner Loop Header: Depth=1
	s_sleep 1
	global_store_dwordx2 v[4:5], v[2:3], off
	v_mov_b32_e32 v0, s4
	v_mov_b32_e32 v1, s5
	buffer_wbl2
	s_waitcnt vmcnt(0)
	global_atomic_cmpswap_x2 v[0:1], v6, v[0:3], s[2:3] offset:32 glc
	s_waitcnt vmcnt(0)
	v_cmp_eq_u64_e32 vcc, v[0:1], v[2:3]
	s_or_b64 s[10:11], vcc, s[10:11]
	v_pk_mov_b32 v[2:3], v[0:1], v[0:1] op_sel:[0,1]
	s_andn2_b64 exec, exec, s[10:11]
	s_cbranch_execnz .LBB0_17
.LBB0_18:
	s_or_b64 exec, exec, s[8:9]
	v_mov_b32_e32 v3, 0
	global_load_dwordx2 v[0:1], v3, s[2:3] offset:16
	s_mov_b64 s[8:9], exec
	v_mbcnt_lo_u32_b32 v2, s8, 0
	v_mbcnt_hi_u32_b32 v2, s9, v2
	v_cmp_eq_u32_e32 vcc, 0, v2
	s_and_saveexec_b64 s[10:11], vcc
	s_cbranch_execz .LBB0_20
; %bb.19:
	s_bcnt1_i32_b64 s8, s[8:9]
	v_mov_b32_e32 v2, s8
	buffer_wbl2
	s_waitcnt vmcnt(0)
	global_atomic_add_x2 v[0:1], v[2:3], off offset:8
.LBB0_20:
	s_or_b64 exec, exec, s[10:11]
	s_waitcnt vmcnt(0)
	global_load_dwordx2 v[2:3], v[0:1], off offset:16
	s_waitcnt vmcnt(0)
	v_cmp_eq_u64_e32 vcc, 0, v[2:3]
	s_cbranch_vccnz .LBB0_22
; %bb.21:
	global_load_dword v0, v[0:1], off offset:24
	v_mov_b32_e32 v1, 0
	buffer_wbl2
	s_waitcnt vmcnt(0)
	global_store_dwordx2 v[2:3], v[0:1], off
	v_and_b32_e32 v0, 0xffffff, v0
	v_readfirstlane_b32 m0, v0
	s_sendmsg sendmsg(MSG_INTERRUPT)
.LBB0_22:
	s_or_b64 exec, exec, s[6:7]
	s_branch .LBB0_26
.LBB0_23:                               ;   in Loop: Header=BB0_26 Depth=1
	s_or_b64 exec, exec, s[6:7]
	v_readfirstlane_b32 s6, v0
	s_cmp_eq_u32 s6, 0
	s_cbranch_scc1 .LBB0_25
; %bb.24:                               ;   in Loop: Header=BB0_26 Depth=1
	s_sleep 1
	s_cbranch_execnz .LBB0_26
	s_branch .LBB0_28
.LBB0_25:
	s_branch .LBB0_28
.LBB0_26:                               ; =>This Inner Loop Header: Depth=1
	v_mov_b32_e32 v0, 1
	s_and_saveexec_b64 s[6:7], s[0:1]
	s_cbranch_execz .LBB0_23
; %bb.27:                               ;   in Loop: Header=BB0_26 Depth=1
	global_load_dword v0, v[8:9], off offset:20 glc
	s_waitcnt vmcnt(0)
	buffer_invl2
	buffer_wbinvl1_vol
	v_and_b32_e32 v0, 1, v0
	s_branch .LBB0_23
.LBB0_28:
	global_load_dwordx2 v[0:1], v[10:11], off
	s_and_saveexec_b64 s[6:7], s[0:1]
	s_cbranch_execz .LBB0_31
; %bb.29:
	v_mov_b32_e32 v8, 0
	global_load_dwordx2 v[6:7], v8, s[2:3] offset:40
	global_load_dwordx2 v[10:11], v8, s[2:3] offset:24 glc
	global_load_dwordx2 v[12:13], v8, s[2:3]
	v_mov_b32_e32 v3, s5
	s_mov_b64 s[0:1], 0
	s_waitcnt vmcnt(2)
	v_add_co_u32_e32 v5, vcc, 1, v6
	v_addc_co_u32_e32 v9, vcc, 0, v7, vcc
	v_add_co_u32_e32 v2, vcc, s4, v5
	v_addc_co_u32_e32 v3, vcc, v9, v3, vcc
	v_cmp_eq_u64_e32 vcc, 0, v[2:3]
	v_cndmask_b32_e32 v3, v3, v9, vcc
	v_cndmask_b32_e32 v2, v2, v5, vcc
	v_and_b32_e32 v5, v3, v7
	v_and_b32_e32 v6, v2, v6
	v_mul_lo_u32 v5, v5, 24
	v_mul_hi_u32 v7, v6, 24
	v_mul_lo_u32 v6, v6, 24
	v_add_u32_e32 v5, v7, v5
	s_waitcnt vmcnt(0)
	v_add_co_u32_e32 v6, vcc, v12, v6
	v_addc_co_u32_e32 v7, vcc, v13, v5, vcc
	v_mov_b32_e32 v4, v10
	global_store_dwordx2 v[6:7], v[10:11], off
	v_mov_b32_e32 v5, v11
	buffer_wbl2
	s_waitcnt vmcnt(0)
	global_atomic_cmpswap_x2 v[4:5], v8, v[2:5], s[2:3] offset:24 glc
	s_waitcnt vmcnt(0)
	v_cmp_ne_u64_e32 vcc, v[4:5], v[10:11]
	s_and_b64 exec, exec, vcc
	s_cbranch_execz .LBB0_31
.LBB0_30:                               ; =>This Inner Loop Header: Depth=1
	s_sleep 1
	global_store_dwordx2 v[6:7], v[4:5], off
	buffer_wbl2
	s_waitcnt vmcnt(0)
	global_atomic_cmpswap_x2 v[10:11], v8, v[2:5], s[2:3] offset:24 glc
	s_waitcnt vmcnt(0)
	v_cmp_eq_u64_e32 vcc, v[10:11], v[4:5]
	s_or_b64 s[0:1], vcc, s[0:1]
	v_pk_mov_b32 v[4:5], v[10:11], v[10:11] op_sel:[0,1]
	s_andn2_b64 exec, exec, s[0:1]
	s_cbranch_execnz .LBB0_30
.LBB0_31:
	s_or_b64 exec, exec, s[6:7]
	s_getpc_b64 s[4:5]
	s_add_u32 s4, s4, .str@rel32@lo+4
	s_addc_u32 s5, s5, .str@rel32@hi+12
	s_cmp_lg_u64 s[4:5], 0
	s_cbranch_scc0 .LBB0_116
; %bb.32:
	s_waitcnt vmcnt(0)
	v_and_b32_e32 v30, 2, v0
	v_mov_b32_e32 v33, 0
	v_and_b32_e32 v2, -3, v0
	v_mov_b32_e32 v3, v1
	s_mov_b64 s[6:7], 31
	v_mov_b32_e32 v6, 2
	v_mov_b32_e32 v7, 1
	s_branch .LBB0_34
.LBB0_33:                               ;   in Loop: Header=BB0_34 Depth=1
	s_or_b64 exec, exec, s[12:13]
	s_sub_u32 s6, s6, s8
	s_subb_u32 s7, s7, s9
	s_add_u32 s4, s4, s8
	s_addc_u32 s5, s5, s9
	s_cmp_lg_u64 s[6:7], 0
	s_cbranch_scc0 .LBB0_115
.LBB0_34:                               ; =>This Loop Header: Depth=1
                                        ;     Child Loop BB0_37 Depth 2
                                        ;     Child Loop BB0_44 Depth 2
                                        ;     Child Loop BB0_52 Depth 2
                                        ;     Child Loop BB0_60 Depth 2
                                        ;     Child Loop BB0_68 Depth 2
                                        ;     Child Loop BB0_76 Depth 2
                                        ;     Child Loop BB0_84 Depth 2
                                        ;     Child Loop BB0_92 Depth 2
                                        ;     Child Loop BB0_100 Depth 2
                                        ;     Child Loop BB0_109 Depth 2
                                        ;     Child Loop BB0_114 Depth 2
	v_cmp_lt_u64_e64 s[0:1], s[6:7], 56
	s_and_b64 s[0:1], s[0:1], exec
	v_cmp_gt_u64_e64 s[0:1], s[6:7], 7
	s_cselect_b32 s9, s7, 0
	s_cselect_b32 s8, s6, 56
	s_and_b64 vcc, exec, s[0:1]
	s_cbranch_vccnz .LBB0_39
; %bb.35:                               ;   in Loop: Header=BB0_34 Depth=1
	s_mov_b64 s[0:1], 0
	s_cmp_eq_u64 s[6:7], 0
	v_pk_mov_b32 v[10:11], 0, 0
	s_cbranch_scc1 .LBB0_38
; %bb.36:                               ;   in Loop: Header=BB0_34 Depth=1
	s_lshl_b64 s[10:11], s[8:9], 3
	s_mov_b64 s[12:13], 0
	v_pk_mov_b32 v[10:11], 0, 0
	s_mov_b64 s[14:15], s[4:5]
.LBB0_37:                               ;   Parent Loop BB0_34 Depth=1
                                        ; =>  This Inner Loop Header: Depth=2
	global_load_ubyte v4, v33, s[14:15]
	s_waitcnt vmcnt(0)
	v_and_b32_e32 v32, 0xffff, v4
	v_lshlrev_b64 v[4:5], s12, v[32:33]
	s_add_u32 s12, s12, 8
	s_addc_u32 s13, s13, 0
	s_add_u32 s14, s14, 1
	s_addc_u32 s15, s15, 0
	v_or_b32_e32 v10, v4, v10
	s_cmp_lg_u32 s10, s12
	v_or_b32_e32 v11, v5, v11
	s_cbranch_scc1 .LBB0_37
.LBB0_38:                               ;   in Loop: Header=BB0_34 Depth=1
	s_mov_b32 s14, 0
	s_andn2_b64 vcc, exec, s[0:1]
	s_mov_b64 s[0:1], s[4:5]
	s_cbranch_vccz .LBB0_40
	s_branch .LBB0_41
.LBB0_39:                               ;   in Loop: Header=BB0_34 Depth=1
                                        ; implicit-def: $vgpr10_vgpr11
                                        ; implicit-def: $sgpr14
	s_mov_b64 s[0:1], s[4:5]
.LBB0_40:                               ;   in Loop: Header=BB0_34 Depth=1
	global_load_dwordx2 v[10:11], v33, s[4:5]
	s_add_i32 s14, s8, -8
	s_add_u32 s0, s4, 8
	s_addc_u32 s1, s5, 0
.LBB0_41:                               ;   in Loop: Header=BB0_34 Depth=1
	s_cmp_gt_u32 s14, 7
	s_cbranch_scc1 .LBB0_45
; %bb.42:                               ;   in Loop: Header=BB0_34 Depth=1
	s_cmp_eq_u32 s14, 0
	s_cbranch_scc1 .LBB0_46
; %bb.43:                               ;   in Loop: Header=BB0_34 Depth=1
	s_mov_b64 s[10:11], 0
	v_pk_mov_b32 v[12:13], 0, 0
	s_mov_b64 s[12:13], 0
.LBB0_44:                               ;   Parent Loop BB0_34 Depth=1
                                        ; =>  This Inner Loop Header: Depth=2
	s_add_u32 s16, s0, s12
	s_addc_u32 s17, s1, s13
	global_load_ubyte v4, v33, s[16:17]
	s_add_u32 s12, s12, 1
	s_addc_u32 s13, s13, 0
	s_waitcnt vmcnt(0)
	v_and_b32_e32 v32, 0xffff, v4
	v_lshlrev_b64 v[4:5], s10, v[32:33]
	s_add_u32 s10, s10, 8
	s_addc_u32 s11, s11, 0
	v_or_b32_e32 v12, v4, v12
	s_cmp_lg_u32 s14, s12
	v_or_b32_e32 v13, v5, v13
	s_cbranch_scc1 .LBB0_44
	s_branch .LBB0_47
.LBB0_45:                               ;   in Loop: Header=BB0_34 Depth=1
                                        ; implicit-def: $vgpr12_vgpr13
                                        ; implicit-def: $sgpr15
	s_branch .LBB0_48
.LBB0_46:                               ;   in Loop: Header=BB0_34 Depth=1
	v_pk_mov_b32 v[12:13], 0, 0
.LBB0_47:                               ;   in Loop: Header=BB0_34 Depth=1
	s_mov_b32 s15, 0
	s_cbranch_execnz .LBB0_49
.LBB0_48:                               ;   in Loop: Header=BB0_34 Depth=1
	global_load_dwordx2 v[12:13], v33, s[0:1]
	s_add_i32 s15, s14, -8
	s_add_u32 s0, s0, 8
	s_addc_u32 s1, s1, 0
.LBB0_49:                               ;   in Loop: Header=BB0_34 Depth=1
	s_cmp_gt_u32 s15, 7
	s_cbranch_scc1 .LBB0_53
; %bb.50:                               ;   in Loop: Header=BB0_34 Depth=1
	s_cmp_eq_u32 s15, 0
	s_cbranch_scc1 .LBB0_54
; %bb.51:                               ;   in Loop: Header=BB0_34 Depth=1
	s_mov_b64 s[10:11], 0
	v_pk_mov_b32 v[14:15], 0, 0
	s_mov_b64 s[12:13], 0
.LBB0_52:                               ;   Parent Loop BB0_34 Depth=1
                                        ; =>  This Inner Loop Header: Depth=2
	s_add_u32 s16, s0, s12
	s_addc_u32 s17, s1, s13
	global_load_ubyte v4, v33, s[16:17]
	s_add_u32 s12, s12, 1
	s_addc_u32 s13, s13, 0
	s_waitcnt vmcnt(0)
	v_and_b32_e32 v32, 0xffff, v4
	v_lshlrev_b64 v[4:5], s10, v[32:33]
	s_add_u32 s10, s10, 8
	s_addc_u32 s11, s11, 0
	v_or_b32_e32 v14, v4, v14
	s_cmp_lg_u32 s15, s12
	v_or_b32_e32 v15, v5, v15
	s_cbranch_scc1 .LBB0_52
	s_branch .LBB0_55
.LBB0_53:                               ;   in Loop: Header=BB0_34 Depth=1
                                        ; implicit-def: $sgpr14
	s_branch .LBB0_56
.LBB0_54:                               ;   in Loop: Header=BB0_34 Depth=1
	v_pk_mov_b32 v[14:15], 0, 0
.LBB0_55:                               ;   in Loop: Header=BB0_34 Depth=1
	s_mov_b32 s14, 0
	s_cbranch_execnz .LBB0_57
.LBB0_56:                               ;   in Loop: Header=BB0_34 Depth=1
	global_load_dwordx2 v[14:15], v33, s[0:1]
	s_add_i32 s14, s15, -8
	s_add_u32 s0, s0, 8
	s_addc_u32 s1, s1, 0
.LBB0_57:                               ;   in Loop: Header=BB0_34 Depth=1
	s_cmp_gt_u32 s14, 7
	s_cbranch_scc1 .LBB0_61
; %bb.58:                               ;   in Loop: Header=BB0_34 Depth=1
	s_cmp_eq_u32 s14, 0
	s_cbranch_scc1 .LBB0_62
; %bb.59:                               ;   in Loop: Header=BB0_34 Depth=1
	s_mov_b64 s[10:11], 0
	v_pk_mov_b32 v[16:17], 0, 0
	s_mov_b64 s[12:13], 0
.LBB0_60:                               ;   Parent Loop BB0_34 Depth=1
                                        ; =>  This Inner Loop Header: Depth=2
	s_add_u32 s16, s0, s12
	s_addc_u32 s17, s1, s13
	global_load_ubyte v4, v33, s[16:17]
	s_add_u32 s12, s12, 1
	s_addc_u32 s13, s13, 0
	s_waitcnt vmcnt(0)
	v_and_b32_e32 v32, 0xffff, v4
	v_lshlrev_b64 v[4:5], s10, v[32:33]
	s_add_u32 s10, s10, 8
	s_addc_u32 s11, s11, 0
	v_or_b32_e32 v16, v4, v16
	s_cmp_lg_u32 s14, s12
	v_or_b32_e32 v17, v5, v17
	s_cbranch_scc1 .LBB0_60
	s_branch .LBB0_63
.LBB0_61:                               ;   in Loop: Header=BB0_34 Depth=1
                                        ; implicit-def: $vgpr16_vgpr17
                                        ; implicit-def: $sgpr15
	s_branch .LBB0_64
.LBB0_62:                               ;   in Loop: Header=BB0_34 Depth=1
	v_pk_mov_b32 v[16:17], 0, 0
.LBB0_63:                               ;   in Loop: Header=BB0_34 Depth=1
	s_mov_b32 s15, 0
	s_cbranch_execnz .LBB0_65
.LBB0_64:                               ;   in Loop: Header=BB0_34 Depth=1
	global_load_dwordx2 v[16:17], v33, s[0:1]
	s_add_i32 s15, s14, -8
	s_add_u32 s0, s0, 8
	s_addc_u32 s1, s1, 0
.LBB0_65:                               ;   in Loop: Header=BB0_34 Depth=1
	s_cmp_gt_u32 s15, 7
	s_cbranch_scc1 .LBB0_69
; %bb.66:                               ;   in Loop: Header=BB0_34 Depth=1
	s_cmp_eq_u32 s15, 0
	s_cbranch_scc1 .LBB0_70
; %bb.67:                               ;   in Loop: Header=BB0_34 Depth=1
	s_mov_b64 s[10:11], 0
	v_pk_mov_b32 v[18:19], 0, 0
	s_mov_b64 s[12:13], 0
.LBB0_68:                               ;   Parent Loop BB0_34 Depth=1
                                        ; =>  This Inner Loop Header: Depth=2
	s_add_u32 s16, s0, s12
	s_addc_u32 s17, s1, s13
	global_load_ubyte v4, v33, s[16:17]
	s_add_u32 s12, s12, 1
	s_addc_u32 s13, s13, 0
	s_waitcnt vmcnt(0)
	v_and_b32_e32 v32, 0xffff, v4
	v_lshlrev_b64 v[4:5], s10, v[32:33]
	s_add_u32 s10, s10, 8
	s_addc_u32 s11, s11, 0
	v_or_b32_e32 v18, v4, v18
	s_cmp_lg_u32 s15, s12
	v_or_b32_e32 v19, v5, v19
	s_cbranch_scc1 .LBB0_68
	s_branch .LBB0_71
.LBB0_69:                               ;   in Loop: Header=BB0_34 Depth=1
                                        ; implicit-def: $sgpr14
	s_branch .LBB0_72
.LBB0_70:                               ;   in Loop: Header=BB0_34 Depth=1
	v_pk_mov_b32 v[18:19], 0, 0
.LBB0_71:                               ;   in Loop: Header=BB0_34 Depth=1
	s_mov_b32 s14, 0
	s_cbranch_execnz .LBB0_73
.LBB0_72:                               ;   in Loop: Header=BB0_34 Depth=1
	global_load_dwordx2 v[18:19], v33, s[0:1]
	s_add_i32 s14, s15, -8
	s_add_u32 s0, s0, 8
	s_addc_u32 s1, s1, 0
.LBB0_73:                               ;   in Loop: Header=BB0_34 Depth=1
	s_cmp_gt_u32 s14, 7
	s_cbranch_scc1 .LBB0_77
; %bb.74:                               ;   in Loop: Header=BB0_34 Depth=1
	s_cmp_eq_u32 s14, 0
	s_cbranch_scc1 .LBB0_78
; %bb.75:                               ;   in Loop: Header=BB0_34 Depth=1
	s_mov_b64 s[10:11], 0
	v_pk_mov_b32 v[20:21], 0, 0
	s_mov_b64 s[12:13], 0
.LBB0_76:                               ;   Parent Loop BB0_34 Depth=1
                                        ; =>  This Inner Loop Header: Depth=2
	s_add_u32 s16, s0, s12
	s_addc_u32 s17, s1, s13
	global_load_ubyte v4, v33, s[16:17]
	s_add_u32 s12, s12, 1
	s_addc_u32 s13, s13, 0
	s_waitcnt vmcnt(0)
	v_and_b32_e32 v32, 0xffff, v4
	v_lshlrev_b64 v[4:5], s10, v[32:33]
	s_add_u32 s10, s10, 8
	s_addc_u32 s11, s11, 0
	v_or_b32_e32 v20, v4, v20
	s_cmp_lg_u32 s14, s12
	v_or_b32_e32 v21, v5, v21
	s_cbranch_scc1 .LBB0_76
	s_branch .LBB0_79
.LBB0_77:                               ;   in Loop: Header=BB0_34 Depth=1
                                        ; implicit-def: $vgpr20_vgpr21
                                        ; implicit-def: $sgpr15
	s_branch .LBB0_80
.LBB0_78:                               ;   in Loop: Header=BB0_34 Depth=1
	v_pk_mov_b32 v[20:21], 0, 0
.LBB0_79:                               ;   in Loop: Header=BB0_34 Depth=1
	s_mov_b32 s15, 0
	s_cbranch_execnz .LBB0_81
.LBB0_80:                               ;   in Loop: Header=BB0_34 Depth=1
	global_load_dwordx2 v[20:21], v33, s[0:1]
	s_add_i32 s15, s14, -8
	s_add_u32 s0, s0, 8
	s_addc_u32 s1, s1, 0
.LBB0_81:                               ;   in Loop: Header=BB0_34 Depth=1
	s_cmp_gt_u32 s15, 7
	s_cbranch_scc1 .LBB0_85
; %bb.82:                               ;   in Loop: Header=BB0_34 Depth=1
	s_cmp_eq_u32 s15, 0
	s_cbranch_scc1 .LBB0_86
; %bb.83:                               ;   in Loop: Header=BB0_34 Depth=1
	s_mov_b64 s[10:11], 0
	v_pk_mov_b32 v[22:23], 0, 0
	s_mov_b64 s[12:13], s[0:1]
.LBB0_84:                               ;   Parent Loop BB0_34 Depth=1
                                        ; =>  This Inner Loop Header: Depth=2
	global_load_ubyte v4, v33, s[12:13]
	s_add_i32 s15, s15, -1
	s_waitcnt vmcnt(0)
	v_and_b32_e32 v32, 0xffff, v4
	v_lshlrev_b64 v[4:5], s10, v[32:33]
	s_add_u32 s10, s10, 8
	s_addc_u32 s11, s11, 0
	s_add_u32 s12, s12, 1
	s_addc_u32 s13, s13, 0
	v_or_b32_e32 v22, v4, v22
	s_cmp_lg_u32 s15, 0
	v_or_b32_e32 v23, v5, v23
	s_cbranch_scc1 .LBB0_84
	s_branch .LBB0_87
.LBB0_85:                               ;   in Loop: Header=BB0_34 Depth=1
	s_branch .LBB0_88
.LBB0_86:                               ;   in Loop: Header=BB0_34 Depth=1
	v_pk_mov_b32 v[22:23], 0, 0
.LBB0_87:                               ;   in Loop: Header=BB0_34 Depth=1
	s_cbranch_execnz .LBB0_89
.LBB0_88:                               ;   in Loop: Header=BB0_34 Depth=1
	global_load_dwordx2 v[22:23], v33, s[0:1]
.LBB0_89:                               ;   in Loop: Header=BB0_34 Depth=1
	v_readfirstlane_b32 s0, v36
	v_cmp_eq_u32_e64 s[0:1], s0, v36
	s_waitcnt vmcnt(0)
	v_pk_mov_b32 v[4:5], 0, 0
	s_and_saveexec_b64 s[10:11], s[0:1]
	s_cbranch_execz .LBB0_95
; %bb.90:                               ;   in Loop: Header=BB0_34 Depth=1
	global_load_dwordx2 v[26:27], v33, s[2:3] offset:24 glc
	s_waitcnt vmcnt(0)
	buffer_invl2
	buffer_wbinvl1_vol
	global_load_dwordx2 v[4:5], v33, s[2:3] offset:40
	global_load_dwordx2 v[8:9], v33, s[2:3]
	s_waitcnt vmcnt(1)
	v_and_b32_e32 v4, v4, v26
	v_and_b32_e32 v5, v5, v27
	v_mul_lo_u32 v5, v5, 24
	v_mul_hi_u32 v24, v4, 24
	v_mul_lo_u32 v4, v4, 24
	v_add_u32_e32 v5, v24, v5
	s_waitcnt vmcnt(0)
	v_add_co_u32_e32 v4, vcc, v8, v4
	v_addc_co_u32_e32 v5, vcc, v9, v5, vcc
	global_load_dwordx2 v[24:25], v[4:5], off glc
	s_waitcnt vmcnt(0)
	global_atomic_cmpswap_x2 v[4:5], v33, v[24:27], s[2:3] offset:24 glc
	s_waitcnt vmcnt(0)
	buffer_invl2
	buffer_wbinvl1_vol
	v_cmp_ne_u64_e32 vcc, v[4:5], v[26:27]
	s_and_saveexec_b64 s[12:13], vcc
	s_cbranch_execz .LBB0_94
; %bb.91:                               ;   in Loop: Header=BB0_34 Depth=1
	s_mov_b64 s[14:15], 0
.LBB0_92:                               ;   Parent Loop BB0_34 Depth=1
                                        ; =>  This Inner Loop Header: Depth=2
	s_sleep 1
	global_load_dwordx2 v[8:9], v33, s[2:3] offset:40
	global_load_dwordx2 v[24:25], v33, s[2:3]
	v_pk_mov_b32 v[26:27], v[4:5], v[4:5] op_sel:[0,1]
	s_waitcnt vmcnt(1)
	v_and_b32_e32 v4, v8, v26
	s_waitcnt vmcnt(0)
	v_mad_u64_u32 v[4:5], s[16:17], v4, 24, v[24:25]
	v_and_b32_e32 v9, v9, v27
	v_mov_b32_e32 v8, v5
	v_mad_u64_u32 v[8:9], s[16:17], v9, 24, v[8:9]
	v_mov_b32_e32 v5, v8
	global_load_dwordx2 v[24:25], v[4:5], off glc
	s_waitcnt vmcnt(0)
	global_atomic_cmpswap_x2 v[4:5], v33, v[24:27], s[2:3] offset:24 glc
	s_waitcnt vmcnt(0)
	buffer_invl2
	buffer_wbinvl1_vol
	v_cmp_eq_u64_e32 vcc, v[4:5], v[26:27]
	s_or_b64 s[14:15], vcc, s[14:15]
	s_andn2_b64 exec, exec, s[14:15]
	s_cbranch_execnz .LBB0_92
; %bb.93:                               ;   in Loop: Header=BB0_34 Depth=1
	s_or_b64 exec, exec, s[14:15]
.LBB0_94:                               ;   in Loop: Header=BB0_34 Depth=1
	s_or_b64 exec, exec, s[12:13]
.LBB0_95:                               ;   in Loop: Header=BB0_34 Depth=1
	s_or_b64 exec, exec, s[10:11]
	global_load_dwordx2 v[8:9], v33, s[2:3] offset:40
	global_load_dwordx4 v[24:27], v33, s[2:3]
	v_readfirstlane_b32 s10, v4
	v_readfirstlane_b32 s11, v5
	s_mov_b64 s[12:13], exec
	s_waitcnt vmcnt(1)
	v_readfirstlane_b32 s14, v8
	v_readfirstlane_b32 s15, v9
	s_and_b64 s[14:15], s[10:11], s[14:15]
	s_mul_i32 s16, s15, 24
	s_mul_hi_u32 s17, s14, 24
	s_mul_i32 s18, s14, 24
	s_add_i32 s16, s17, s16
	v_mov_b32_e32 v4, s16
	s_waitcnt vmcnt(0)
	v_add_co_u32_e32 v34, vcc, s18, v24
	v_addc_co_u32_e32 v35, vcc, v25, v4, vcc
	s_and_saveexec_b64 s[16:17], s[0:1]
	s_cbranch_execz .LBB0_97
; %bb.96:                               ;   in Loop: Header=BB0_34 Depth=1
	v_pk_mov_b32 v[4:5], s[12:13], s[12:13] op_sel:[0,1]
	global_store_dwordx4 v[34:35], v[4:7], off offset:8
.LBB0_97:                               ;   in Loop: Header=BB0_34 Depth=1
	s_or_b64 exec, exec, s[16:17]
	s_lshl_b64 s[12:13], s[14:15], 12
	v_mov_b32_e32 v4, s13
	v_add_co_u32_e32 v26, vcc, s12, v26
	v_addc_co_u32_e32 v27, vcc, v27, v4, vcc
	v_or_b32_e32 v5, v2, v30
	v_cmp_gt_u64_e64 vcc, s[6:7], 56
	s_lshl_b32 s12, s8, 2
	v_cndmask_b32_e32 v2, v5, v2, vcc
	s_add_i32 s12, s12, 28
	v_or_b32_e32 v4, 0, v3
	s_and_b32 s12, s12, 0x1e0
	v_and_b32_e32 v2, 0xffffff1f, v2
	v_cndmask_b32_e32 v9, v4, v3, vcc
	v_or_b32_e32 v8, s12, v2
	v_readfirstlane_b32 s12, v26
	v_readfirstlane_b32 s13, v27
	s_nop 4
	global_store_dwordx4 v31, v[8:11], s[12:13]
	global_store_dwordx4 v31, v[12:15], s[12:13] offset:16
	global_store_dwordx4 v31, v[16:19], s[12:13] offset:32
	;; [unrolled: 1-line block ×3, first 2 shown]
	s_and_saveexec_b64 s[12:13], s[0:1]
	s_cbranch_execz .LBB0_105
; %bb.98:                               ;   in Loop: Header=BB0_34 Depth=1
	global_load_dwordx2 v[12:13], v33, s[2:3] offset:32 glc
	global_load_dwordx2 v[2:3], v33, s[2:3] offset:40
	v_mov_b32_e32 v10, s10
	v_mov_b32_e32 v11, s11
	s_waitcnt vmcnt(0)
	v_readfirstlane_b32 s14, v2
	v_readfirstlane_b32 s15, v3
	s_and_b64 s[14:15], s[14:15], s[10:11]
	s_mul_i32 s15, s15, 24
	s_mul_hi_u32 s16, s14, 24
	s_mul_i32 s14, s14, 24
	s_add_i32 s15, s16, s15
	v_mov_b32_e32 v2, s15
	v_add_co_u32_e32 v8, vcc, s14, v24
	v_addc_co_u32_e32 v9, vcc, v25, v2, vcc
	global_store_dwordx2 v[8:9], v[12:13], off
	buffer_wbl2
	s_waitcnt vmcnt(0)
	global_atomic_cmpswap_x2 v[4:5], v33, v[10:13], s[2:3] offset:32 glc
	s_waitcnt vmcnt(0)
	v_cmp_ne_u64_e32 vcc, v[4:5], v[12:13]
	s_and_saveexec_b64 s[14:15], vcc
	s_cbranch_execz .LBB0_101
; %bb.99:                               ;   in Loop: Header=BB0_34 Depth=1
	s_mov_b64 s[16:17], 0
.LBB0_100:                              ;   Parent Loop BB0_34 Depth=1
                                        ; =>  This Inner Loop Header: Depth=2
	s_sleep 1
	global_store_dwordx2 v[8:9], v[4:5], off
	v_mov_b32_e32 v2, s10
	v_mov_b32_e32 v3, s11
	buffer_wbl2
	s_waitcnt vmcnt(0)
	global_atomic_cmpswap_x2 v[2:3], v33, v[2:5], s[2:3] offset:32 glc
	s_waitcnt vmcnt(0)
	v_cmp_eq_u64_e32 vcc, v[2:3], v[4:5]
	s_or_b64 s[16:17], vcc, s[16:17]
	v_pk_mov_b32 v[4:5], v[2:3], v[2:3] op_sel:[0,1]
	s_andn2_b64 exec, exec, s[16:17]
	s_cbranch_execnz .LBB0_100
.LBB0_101:                              ;   in Loop: Header=BB0_34 Depth=1
	s_or_b64 exec, exec, s[14:15]
	global_load_dwordx2 v[2:3], v33, s[2:3] offset:16
	s_mov_b64 s[16:17], exec
	v_mbcnt_lo_u32_b32 v4, s16, 0
	v_mbcnt_hi_u32_b32 v4, s17, v4
	v_cmp_eq_u32_e32 vcc, 0, v4
	s_and_saveexec_b64 s[14:15], vcc
	s_cbranch_execz .LBB0_103
; %bb.102:                              ;   in Loop: Header=BB0_34 Depth=1
	s_bcnt1_i32_b64 s16, s[16:17]
	v_mov_b32_e32 v32, s16
	buffer_wbl2
	s_waitcnt vmcnt(0)
	global_atomic_add_x2 v[2:3], v[32:33], off offset:8
.LBB0_103:                              ;   in Loop: Header=BB0_34 Depth=1
	s_or_b64 exec, exec, s[14:15]
	s_waitcnt vmcnt(0)
	global_load_dwordx2 v[4:5], v[2:3], off offset:16
	s_waitcnt vmcnt(0)
	v_cmp_eq_u64_e32 vcc, 0, v[4:5]
	s_cbranch_vccnz .LBB0_105
; %bb.104:                              ;   in Loop: Header=BB0_34 Depth=1
	global_load_dword v32, v[2:3], off offset:24
	s_waitcnt vmcnt(0)
	v_and_b32_e32 v2, 0xffffff, v32
	v_readfirstlane_b32 m0, v2
	buffer_wbl2
	global_store_dwordx2 v[4:5], v[32:33], off
	s_sendmsg sendmsg(MSG_INTERRUPT)
.LBB0_105:                              ;   in Loop: Header=BB0_34 Depth=1
	s_or_b64 exec, exec, s[12:13]
	v_add_co_u32_e32 v2, vcc, v26, v31
	v_addc_co_u32_e32 v3, vcc, 0, v27, vcc
	s_branch .LBB0_109
.LBB0_106:                              ;   in Loop: Header=BB0_109 Depth=2
	s_or_b64 exec, exec, s[12:13]
	v_readfirstlane_b32 s12, v4
	s_cmp_eq_u32 s12, 0
	s_cbranch_scc1 .LBB0_108
; %bb.107:                              ;   in Loop: Header=BB0_109 Depth=2
	s_sleep 1
	s_cbranch_execnz .LBB0_109
	s_branch .LBB0_111
.LBB0_108:                              ;   in Loop: Header=BB0_34 Depth=1
	s_branch .LBB0_111
.LBB0_109:                              ;   Parent Loop BB0_34 Depth=1
                                        ; =>  This Inner Loop Header: Depth=2
	v_mov_b32_e32 v4, 1
	s_and_saveexec_b64 s[12:13], s[0:1]
	s_cbranch_execz .LBB0_106
; %bb.110:                              ;   in Loop: Header=BB0_109 Depth=2
	global_load_dword v4, v[34:35], off offset:20 glc
	s_waitcnt vmcnt(0)
	buffer_invl2
	buffer_wbinvl1_vol
	v_and_b32_e32 v4, 1, v4
	s_branch .LBB0_106
.LBB0_111:                              ;   in Loop: Header=BB0_34 Depth=1
	global_load_dwordx4 v[2:5], v[2:3], off
	s_and_saveexec_b64 s[12:13], s[0:1]
	s_cbranch_execz .LBB0_33
; %bb.112:                              ;   in Loop: Header=BB0_34 Depth=1
	global_load_dwordx2 v[4:5], v33, s[2:3] offset:40
	global_load_dwordx2 v[12:13], v33, s[2:3] offset:24 glc
	global_load_dwordx2 v[14:15], v33, s[2:3]
	v_mov_b32_e32 v9, s11
	s_waitcnt vmcnt(2)
	v_add_co_u32_e32 v11, vcc, 1, v4
	v_addc_co_u32_e32 v16, vcc, 0, v5, vcc
	v_add_co_u32_e32 v8, vcc, s10, v11
	v_addc_co_u32_e32 v9, vcc, v16, v9, vcc
	v_cmp_eq_u64_e32 vcc, 0, v[8:9]
	v_cndmask_b32_e32 v9, v9, v16, vcc
	v_cndmask_b32_e32 v8, v8, v11, vcc
	v_and_b32_e32 v5, v9, v5
	v_and_b32_e32 v4, v8, v4
	v_mul_lo_u32 v5, v5, 24
	v_mul_hi_u32 v11, v4, 24
	v_mul_lo_u32 v4, v4, 24
	v_add_u32_e32 v5, v11, v5
	s_waitcnt vmcnt(0)
	v_add_co_u32_e32 v4, vcc, v14, v4
	v_addc_co_u32_e32 v5, vcc, v15, v5, vcc
	v_mov_b32_e32 v10, v12
	global_store_dwordx2 v[4:5], v[12:13], off
	v_mov_b32_e32 v11, v13
	buffer_wbl2
	s_waitcnt vmcnt(0)
	global_atomic_cmpswap_x2 v[10:11], v33, v[8:11], s[2:3] offset:24 glc
	s_waitcnt vmcnt(0)
	v_cmp_ne_u64_e32 vcc, v[10:11], v[12:13]
	s_and_b64 exec, exec, vcc
	s_cbranch_execz .LBB0_33
; %bb.113:                              ;   in Loop: Header=BB0_34 Depth=1
	s_mov_b64 s[0:1], 0
.LBB0_114:                              ;   Parent Loop BB0_34 Depth=1
                                        ; =>  This Inner Loop Header: Depth=2
	s_sleep 1
	global_store_dwordx2 v[4:5], v[10:11], off
	buffer_wbl2
	s_waitcnt vmcnt(0)
	global_atomic_cmpswap_x2 v[12:13], v33, v[8:11], s[2:3] offset:24 glc
	s_waitcnt vmcnt(0)
	v_cmp_eq_u64_e32 vcc, v[12:13], v[10:11]
	s_or_b64 s[0:1], vcc, s[0:1]
	v_pk_mov_b32 v[10:11], v[12:13], v[12:13] op_sel:[0,1]
	s_andn2_b64 exec, exec, s[0:1]
	s_cbranch_execnz .LBB0_114
	s_branch .LBB0_33
.LBB0_115:
	s_branch .LBB0_143
.LBB0_116:
                                        ; implicit-def: $vgpr2_vgpr3
	s_cbranch_execz .LBB0_143
; %bb.117:
	v_readfirstlane_b32 s0, v36
	v_cmp_eq_u32_e64 s[0:1], s0, v36
	v_pk_mov_b32 v[8:9], 0, 0
	s_and_saveexec_b64 s[4:5], s[0:1]
	s_cbranch_execz .LBB0_123
; %bb.118:
	s_waitcnt vmcnt(0)
	v_mov_b32_e32 v2, 0
	global_load_dwordx2 v[6:7], v2, s[2:3] offset:24 glc
	s_waitcnt vmcnt(0)
	buffer_invl2
	buffer_wbinvl1_vol
	global_load_dwordx2 v[4:5], v2, s[2:3] offset:40
	global_load_dwordx2 v[8:9], v2, s[2:3]
	s_waitcnt vmcnt(1)
	v_and_b32_e32 v3, v4, v6
	v_and_b32_e32 v4, v5, v7
	v_mul_lo_u32 v4, v4, 24
	v_mul_hi_u32 v5, v3, 24
	v_mul_lo_u32 v3, v3, 24
	v_add_u32_e32 v5, v5, v4
	s_waitcnt vmcnt(0)
	v_add_co_u32_e32 v4, vcc, v8, v3
	v_addc_co_u32_e32 v5, vcc, v9, v5, vcc
	global_load_dwordx2 v[4:5], v[4:5], off glc
	s_waitcnt vmcnt(0)
	global_atomic_cmpswap_x2 v[8:9], v2, v[4:7], s[2:3] offset:24 glc
	s_waitcnt vmcnt(0)
	buffer_invl2
	buffer_wbinvl1_vol
	v_cmp_ne_u64_e32 vcc, v[8:9], v[6:7]
	s_and_saveexec_b64 s[6:7], vcc
	s_cbranch_execz .LBB0_122
; %bb.119:
	s_mov_b64 s[8:9], 0
.LBB0_120:                              ; =>This Inner Loop Header: Depth=1
	s_sleep 1
	global_load_dwordx2 v[4:5], v2, s[2:3] offset:40
	global_load_dwordx2 v[10:11], v2, s[2:3]
	v_pk_mov_b32 v[6:7], v[8:9], v[8:9] op_sel:[0,1]
	s_waitcnt vmcnt(1)
	v_and_b32_e32 v4, v4, v6
	v_and_b32_e32 v3, v5, v7
	s_waitcnt vmcnt(0)
	v_mad_u64_u32 v[4:5], s[10:11], v4, 24, v[10:11]
	v_mov_b32_e32 v8, v5
	v_mad_u64_u32 v[8:9], s[10:11], v3, 24, v[8:9]
	v_mov_b32_e32 v5, v8
	global_load_dwordx2 v[4:5], v[4:5], off glc
	s_waitcnt vmcnt(0)
	global_atomic_cmpswap_x2 v[8:9], v2, v[4:7], s[2:3] offset:24 glc
	s_waitcnt vmcnt(0)
	buffer_invl2
	buffer_wbinvl1_vol
	v_cmp_eq_u64_e32 vcc, v[8:9], v[6:7]
	s_or_b64 s[8:9], vcc, s[8:9]
	s_andn2_b64 exec, exec, s[8:9]
	s_cbranch_execnz .LBB0_120
; %bb.121:
	s_or_b64 exec, exec, s[8:9]
.LBB0_122:
	s_or_b64 exec, exec, s[6:7]
.LBB0_123:
	s_or_b64 exec, exec, s[4:5]
	s_waitcnt vmcnt(0)
	v_mov_b32_e32 v2, 0
	global_load_dwordx2 v[10:11], v2, s[2:3] offset:40
	global_load_dwordx4 v[4:7], v2, s[2:3]
	v_readfirstlane_b32 s4, v8
	v_readfirstlane_b32 s5, v9
	s_mov_b64 s[6:7], exec
	s_waitcnt vmcnt(1)
	v_readfirstlane_b32 s8, v10
	v_readfirstlane_b32 s9, v11
	s_and_b64 s[8:9], s[4:5], s[8:9]
	s_mul_i32 s10, s9, 24
	s_mul_hi_u32 s11, s8, 24
	s_mul_i32 s12, s8, 24
	s_add_i32 s10, s11, s10
	v_mov_b32_e32 v3, s10
	s_waitcnt vmcnt(0)
	v_add_co_u32_e32 v8, vcc, s12, v4
	v_addc_co_u32_e32 v9, vcc, v5, v3, vcc
	s_and_saveexec_b64 s[10:11], s[0:1]
	s_cbranch_execz .LBB0_125
; %bb.124:
	v_pk_mov_b32 v[10:11], s[6:7], s[6:7] op_sel:[0,1]
	v_mov_b32_e32 v12, 2
	v_mov_b32_e32 v13, 1
	global_store_dwordx4 v[8:9], v[10:13], off offset:8
.LBB0_125:
	s_or_b64 exec, exec, s[10:11]
	s_lshl_b64 s[6:7], s[8:9], 12
	v_mov_b32_e32 v3, s7
	v_add_co_u32_e32 v10, vcc, s6, v6
	v_addc_co_u32_e32 v11, vcc, v7, v3, vcc
	s_movk_i32 s6, 0xff1f
	s_mov_b32 s8, 0
	v_and_or_b32 v0, v0, s6, 32
	v_mov_b32_e32 v3, v2
	v_readfirstlane_b32 s6, v10
	v_readfirstlane_b32 s7, v11
	s_mov_b32 s9, s8
	v_add_co_u32_e32 v6, vcc, v10, v31
	s_mov_b32 s10, s8
	s_mov_b32 s11, s8
	s_nop 0
	global_store_dwordx4 v31, v[0:3], s[6:7]
	v_addc_co_u32_e32 v7, vcc, 0, v11, vcc
	v_pk_mov_b32 v[0:1], s[8:9], s[8:9] op_sel:[0,1]
	v_pk_mov_b32 v[2:3], s[10:11], s[10:11] op_sel:[0,1]
	global_store_dwordx4 v31, v[0:3], s[6:7] offset:16
	global_store_dwordx4 v31, v[0:3], s[6:7] offset:32
	;; [unrolled: 1-line block ×3, first 2 shown]
	s_and_saveexec_b64 s[6:7], s[0:1]
	s_cbranch_execz .LBB0_133
; %bb.126:
	v_mov_b32_e32 v10, 0
	global_load_dwordx2 v[14:15], v10, s[2:3] offset:32 glc
	global_load_dwordx2 v[0:1], v10, s[2:3] offset:40
	v_mov_b32_e32 v12, s4
	v_mov_b32_e32 v13, s5
	s_waitcnt vmcnt(0)
	v_readfirstlane_b32 s8, v0
	v_readfirstlane_b32 s9, v1
	s_and_b64 s[8:9], s[8:9], s[4:5]
	s_mul_i32 s9, s9, 24
	s_mul_hi_u32 s10, s8, 24
	s_mul_i32 s8, s8, 24
	s_add_i32 s9, s10, s9
	v_mov_b32_e32 v0, s9
	v_add_co_u32_e32 v4, vcc, s8, v4
	v_addc_co_u32_e32 v5, vcc, v5, v0, vcc
	global_store_dwordx2 v[4:5], v[14:15], off
	buffer_wbl2
	s_waitcnt vmcnt(0)
	global_atomic_cmpswap_x2 v[2:3], v10, v[12:15], s[2:3] offset:32 glc
	s_waitcnt vmcnt(0)
	v_cmp_ne_u64_e32 vcc, v[2:3], v[14:15]
	s_and_saveexec_b64 s[8:9], vcc
	s_cbranch_execz .LBB0_129
; %bb.127:
	s_mov_b64 s[10:11], 0
.LBB0_128:                              ; =>This Inner Loop Header: Depth=1
	s_sleep 1
	global_store_dwordx2 v[4:5], v[2:3], off
	v_mov_b32_e32 v0, s4
	v_mov_b32_e32 v1, s5
	buffer_wbl2
	s_waitcnt vmcnt(0)
	global_atomic_cmpswap_x2 v[0:1], v10, v[0:3], s[2:3] offset:32 glc
	s_waitcnt vmcnt(0)
	v_cmp_eq_u64_e32 vcc, v[0:1], v[2:3]
	s_or_b64 s[10:11], vcc, s[10:11]
	v_pk_mov_b32 v[2:3], v[0:1], v[0:1] op_sel:[0,1]
	s_andn2_b64 exec, exec, s[10:11]
	s_cbranch_execnz .LBB0_128
.LBB0_129:
	s_or_b64 exec, exec, s[8:9]
	v_mov_b32_e32 v3, 0
	global_load_dwordx2 v[0:1], v3, s[2:3] offset:16
	s_mov_b64 s[8:9], exec
	v_mbcnt_lo_u32_b32 v2, s8, 0
	v_mbcnt_hi_u32_b32 v2, s9, v2
	v_cmp_eq_u32_e32 vcc, 0, v2
	s_and_saveexec_b64 s[10:11], vcc
	s_cbranch_execz .LBB0_131
; %bb.130:
	s_bcnt1_i32_b64 s8, s[8:9]
	v_mov_b32_e32 v2, s8
	buffer_wbl2
	s_waitcnt vmcnt(0)
	global_atomic_add_x2 v[0:1], v[2:3], off offset:8
.LBB0_131:
	s_or_b64 exec, exec, s[10:11]
	s_waitcnt vmcnt(0)
	global_load_dwordx2 v[2:3], v[0:1], off offset:16
	s_waitcnt vmcnt(0)
	v_cmp_eq_u64_e32 vcc, 0, v[2:3]
	s_cbranch_vccnz .LBB0_133
; %bb.132:
	global_load_dword v0, v[0:1], off offset:24
	v_mov_b32_e32 v1, 0
	buffer_wbl2
	s_waitcnt vmcnt(0)
	global_store_dwordx2 v[2:3], v[0:1], off
	v_and_b32_e32 v0, 0xffffff, v0
	v_readfirstlane_b32 m0, v0
	s_sendmsg sendmsg(MSG_INTERRUPT)
.LBB0_133:
	s_or_b64 exec, exec, s[6:7]
	s_branch .LBB0_137
.LBB0_134:                              ;   in Loop: Header=BB0_137 Depth=1
	s_or_b64 exec, exec, s[6:7]
	v_readfirstlane_b32 s6, v0
	s_cmp_eq_u32 s6, 0
	s_cbranch_scc1 .LBB0_136
; %bb.135:                              ;   in Loop: Header=BB0_137 Depth=1
	s_sleep 1
	s_cbranch_execnz .LBB0_137
	s_branch .LBB0_139
.LBB0_136:
	s_branch .LBB0_139
.LBB0_137:                              ; =>This Inner Loop Header: Depth=1
	v_mov_b32_e32 v0, 1
	s_and_saveexec_b64 s[6:7], s[0:1]
	s_cbranch_execz .LBB0_134
; %bb.138:                              ;   in Loop: Header=BB0_137 Depth=1
	global_load_dword v0, v[8:9], off offset:20 glc
	s_waitcnt vmcnt(0)
	buffer_invl2
	buffer_wbinvl1_vol
	v_and_b32_e32 v0, 1, v0
	s_branch .LBB0_134
.LBB0_139:
	global_load_dwordx2 v[2:3], v[6:7], off
	s_and_saveexec_b64 s[6:7], s[0:1]
	s_cbranch_execz .LBB0_142
; %bb.140:
	v_mov_b32_e32 v8, 0
	global_load_dwordx2 v[0:1], v8, s[2:3] offset:40
	global_load_dwordx2 v[10:11], v8, s[2:3] offset:24 glc
	global_load_dwordx2 v[12:13], v8, s[2:3]
	v_mov_b32_e32 v5, s5
	s_mov_b64 s[0:1], 0
	s_waitcnt vmcnt(2)
	v_add_co_u32_e32 v7, vcc, 1, v0
	v_addc_co_u32_e32 v9, vcc, 0, v1, vcc
	v_add_co_u32_e32 v4, vcc, s4, v7
	v_addc_co_u32_e32 v5, vcc, v9, v5, vcc
	v_cmp_eq_u64_e32 vcc, 0, v[4:5]
	v_cndmask_b32_e32 v5, v5, v9, vcc
	v_cndmask_b32_e32 v4, v4, v7, vcc
	v_and_b32_e32 v1, v5, v1
	v_and_b32_e32 v0, v4, v0
	v_mul_lo_u32 v1, v1, 24
	v_mul_hi_u32 v7, v0, 24
	v_mul_lo_u32 v0, v0, 24
	v_add_u32_e32 v1, v7, v1
	s_waitcnt vmcnt(0)
	v_add_co_u32_e32 v0, vcc, v12, v0
	v_addc_co_u32_e32 v1, vcc, v13, v1, vcc
	v_mov_b32_e32 v6, v10
	global_store_dwordx2 v[0:1], v[10:11], off
	v_mov_b32_e32 v7, v11
	buffer_wbl2
	s_waitcnt vmcnt(0)
	global_atomic_cmpswap_x2 v[6:7], v8, v[4:7], s[2:3] offset:24 glc
	s_waitcnt vmcnt(0)
	v_cmp_ne_u64_e32 vcc, v[6:7], v[10:11]
	s_and_b64 exec, exec, vcc
	s_cbranch_execz .LBB0_142
.LBB0_141:                              ; =>This Inner Loop Header: Depth=1
	s_sleep 1
	global_store_dwordx2 v[0:1], v[6:7], off
	buffer_wbl2
	s_waitcnt vmcnt(0)
	global_atomic_cmpswap_x2 v[10:11], v8, v[4:7], s[2:3] offset:24 glc
	s_waitcnt vmcnt(0)
	v_cmp_eq_u64_e32 vcc, v[10:11], v[6:7]
	s_or_b64 s[0:1], vcc, s[0:1]
	v_pk_mov_b32 v[6:7], v[10:11], v[10:11] op_sel:[0,1]
	s_andn2_b64 exec, exec, s[0:1]
	s_cbranch_execnz .LBB0_141
.LBB0_142:
	s_or_b64 exec, exec, s[6:7]
.LBB0_143:
	v_readfirstlane_b32 s0, v36
	v_cmp_eq_u32_e64 s[0:1], s0, v36
	s_waitcnt vmcnt(0)
	v_pk_mov_b32 v[0:1], 0, 0
	s_and_saveexec_b64 s[4:5], s[0:1]
	s_cbranch_execz .LBB0_149
; %bb.144:
	v_mov_b32_e32 v4, 0
	global_load_dwordx2 v[8:9], v4, s[2:3] offset:24 glc
	s_waitcnt vmcnt(0)
	buffer_invl2
	buffer_wbinvl1_vol
	global_load_dwordx2 v[0:1], v4, s[2:3] offset:40
	global_load_dwordx2 v[6:7], v4, s[2:3]
	s_waitcnt vmcnt(1)
	v_and_b32_e32 v0, v0, v8
	v_and_b32_e32 v1, v1, v9
	v_mul_lo_u32 v1, v1, 24
	v_mul_hi_u32 v5, v0, 24
	v_mul_lo_u32 v0, v0, 24
	v_add_u32_e32 v1, v5, v1
	s_waitcnt vmcnt(0)
	v_add_co_u32_e32 v0, vcc, v6, v0
	v_addc_co_u32_e32 v1, vcc, v7, v1, vcc
	global_load_dwordx2 v[6:7], v[0:1], off glc
	s_waitcnt vmcnt(0)
	global_atomic_cmpswap_x2 v[0:1], v4, v[6:9], s[2:3] offset:24 glc
	s_waitcnt vmcnt(0)
	buffer_invl2
	buffer_wbinvl1_vol
	v_cmp_ne_u64_e32 vcc, v[0:1], v[8:9]
	s_and_saveexec_b64 s[6:7], vcc
	s_cbranch_execz .LBB0_148
; %bb.145:
	s_mov_b64 s[8:9], 0
.LBB0_146:                              ; =>This Inner Loop Header: Depth=1
	s_sleep 1
	global_load_dwordx2 v[6:7], v4, s[2:3] offset:40
	global_load_dwordx2 v[10:11], v4, s[2:3]
	v_pk_mov_b32 v[8:9], v[0:1], v[0:1] op_sel:[0,1]
	s_waitcnt vmcnt(1)
	v_and_b32_e32 v0, v6, v8
	s_waitcnt vmcnt(0)
	v_mad_u64_u32 v[0:1], s[10:11], v0, 24, v[10:11]
	v_and_b32_e32 v5, v7, v9
	v_mov_b32_e32 v6, v1
	v_mad_u64_u32 v[6:7], s[10:11], v5, 24, v[6:7]
	v_mov_b32_e32 v1, v6
	global_load_dwordx2 v[6:7], v[0:1], off glc
	s_waitcnt vmcnt(0)
	global_atomic_cmpswap_x2 v[0:1], v4, v[6:9], s[2:3] offset:24 glc
	s_waitcnt vmcnt(0)
	buffer_invl2
	buffer_wbinvl1_vol
	v_cmp_eq_u64_e32 vcc, v[0:1], v[8:9]
	s_or_b64 s[8:9], vcc, s[8:9]
	s_andn2_b64 exec, exec, s[8:9]
	s_cbranch_execnz .LBB0_146
; %bb.147:
	s_or_b64 exec, exec, s[8:9]
.LBB0_148:
	s_or_b64 exec, exec, s[6:7]
.LBB0_149:
	s_or_b64 exec, exec, s[4:5]
	v_mov_b32_e32 v5, 0
	global_load_dwordx2 v[10:11], v5, s[2:3] offset:40
	global_load_dwordx4 v[6:9], v5, s[2:3]
	v_readfirstlane_b32 s4, v0
	v_readfirstlane_b32 s5, v1
	s_mov_b64 s[6:7], exec
	s_waitcnt vmcnt(1)
	v_readfirstlane_b32 s8, v10
	v_readfirstlane_b32 s9, v11
	s_and_b64 s[8:9], s[4:5], s[8:9]
	s_mul_i32 s10, s9, 24
	s_mul_hi_u32 s11, s8, 24
	s_mul_i32 s12, s8, 24
	s_add_i32 s10, s11, s10
	v_mov_b32_e32 v0, s10
	s_waitcnt vmcnt(0)
	v_add_co_u32_e32 v10, vcc, s12, v6
	v_addc_co_u32_e32 v11, vcc, v7, v0, vcc
	s_and_saveexec_b64 s[10:11], s[0:1]
	s_cbranch_execz .LBB0_151
; %bb.150:
	v_pk_mov_b32 v[12:13], s[6:7], s[6:7] op_sel:[0,1]
	v_mov_b32_e32 v14, 2
	v_mov_b32_e32 v15, 1
	global_store_dwordx4 v[10:11], v[12:15], off offset:8
.LBB0_151:
	s_or_b64 exec, exec, s[10:11]
	s_lshl_b64 s[6:7], s[8:9], 12
	v_mov_b32_e32 v1, s7
	v_add_co_u32_e32 v0, vcc, s6, v8
	v_addc_co_u32_e32 v1, vcc, v9, v1, vcc
	s_mov_b32 s8, 0
	s_movk_i32 s6, 0xff1f
	v_and_or_b32 v2, v2, s6, 32
	v_add_co_u32_e32 v8, vcc, v0, v31
	v_mov_b32_e32 v4, v28
	v_readfirstlane_b32 s6, v0
	v_readfirstlane_b32 s7, v1
	s_mov_b32 s9, s8
	v_addc_co_u32_e32 v9, vcc, 0, v1, vcc
	s_mov_b32 s10, s8
	s_mov_b32 s11, s8
	s_nop 0
	global_store_dwordx4 v31, v[2:5], s[6:7]
	v_pk_mov_b32 v[0:1], s[8:9], s[8:9] op_sel:[0,1]
	v_pk_mov_b32 v[2:3], s[10:11], s[10:11] op_sel:[0,1]
	global_store_dwordx4 v31, v[0:3], s[6:7] offset:16
	global_store_dwordx4 v31, v[0:3], s[6:7] offset:32
	global_store_dwordx4 v31, v[0:3], s[6:7] offset:48
	s_and_saveexec_b64 s[6:7], s[0:1]
	s_cbranch_execz .LBB0_159
; %bb.152:
	v_mov_b32_e32 v12, 0
	global_load_dwordx2 v[16:17], v12, s[2:3] offset:32 glc
	global_load_dwordx2 v[0:1], v12, s[2:3] offset:40
	v_mov_b32_e32 v14, s4
	v_mov_b32_e32 v15, s5
	s_waitcnt vmcnt(0)
	v_readfirstlane_b32 s8, v0
	v_readfirstlane_b32 s9, v1
	s_and_b64 s[8:9], s[8:9], s[4:5]
	s_mul_i32 s9, s9, 24
	s_mul_hi_u32 s10, s8, 24
	s_mul_i32 s8, s8, 24
	s_add_i32 s9, s10, s9
	v_mov_b32_e32 v0, s9
	v_add_co_u32_e32 v4, vcc, s8, v6
	v_addc_co_u32_e32 v5, vcc, v7, v0, vcc
	global_store_dwordx2 v[4:5], v[16:17], off
	buffer_wbl2
	s_waitcnt vmcnt(0)
	global_atomic_cmpswap_x2 v[2:3], v12, v[14:17], s[2:3] offset:32 glc
	s_waitcnt vmcnt(0)
	v_cmp_ne_u64_e32 vcc, v[2:3], v[16:17]
	s_and_saveexec_b64 s[8:9], vcc
	s_cbranch_execz .LBB0_155
; %bb.153:
	s_mov_b64 s[10:11], 0
.LBB0_154:                              ; =>This Inner Loop Header: Depth=1
	s_sleep 1
	global_store_dwordx2 v[4:5], v[2:3], off
	v_mov_b32_e32 v0, s4
	v_mov_b32_e32 v1, s5
	buffer_wbl2
	s_waitcnt vmcnt(0)
	global_atomic_cmpswap_x2 v[0:1], v12, v[0:3], s[2:3] offset:32 glc
	s_waitcnt vmcnt(0)
	v_cmp_eq_u64_e32 vcc, v[0:1], v[2:3]
	s_or_b64 s[10:11], vcc, s[10:11]
	v_pk_mov_b32 v[2:3], v[0:1], v[0:1] op_sel:[0,1]
	s_andn2_b64 exec, exec, s[10:11]
	s_cbranch_execnz .LBB0_154
.LBB0_155:
	s_or_b64 exec, exec, s[8:9]
	v_mov_b32_e32 v3, 0
	global_load_dwordx2 v[0:1], v3, s[2:3] offset:16
	s_mov_b64 s[8:9], exec
	v_mbcnt_lo_u32_b32 v2, s8, 0
	v_mbcnt_hi_u32_b32 v2, s9, v2
	v_cmp_eq_u32_e32 vcc, 0, v2
	s_and_saveexec_b64 s[10:11], vcc
	s_cbranch_execz .LBB0_157
; %bb.156:
	s_bcnt1_i32_b64 s8, s[8:9]
	v_mov_b32_e32 v2, s8
	buffer_wbl2
	s_waitcnt vmcnt(0)
	global_atomic_add_x2 v[0:1], v[2:3], off offset:8
.LBB0_157:
	s_or_b64 exec, exec, s[10:11]
	s_waitcnt vmcnt(0)
	global_load_dwordx2 v[2:3], v[0:1], off offset:16
	s_waitcnt vmcnt(0)
	v_cmp_eq_u64_e32 vcc, 0, v[2:3]
	s_cbranch_vccnz .LBB0_159
; %bb.158:
	global_load_dword v0, v[0:1], off offset:24
	v_mov_b32_e32 v1, 0
	buffer_wbl2
	s_waitcnt vmcnt(0)
	global_store_dwordx2 v[2:3], v[0:1], off
	v_and_b32_e32 v0, 0xffffff, v0
	v_readfirstlane_b32 m0, v0
	s_sendmsg sendmsg(MSG_INTERRUPT)
.LBB0_159:
	s_or_b64 exec, exec, s[6:7]
	s_branch .LBB0_163
.LBB0_160:                              ;   in Loop: Header=BB0_163 Depth=1
	s_or_b64 exec, exec, s[6:7]
	v_readfirstlane_b32 s6, v0
	s_cmp_eq_u32 s6, 0
	s_cbranch_scc1 .LBB0_162
; %bb.161:                              ;   in Loop: Header=BB0_163 Depth=1
	s_sleep 1
	s_cbranch_execnz .LBB0_163
	s_branch .LBB0_165
.LBB0_162:
	s_branch .LBB0_165
.LBB0_163:                              ; =>This Inner Loop Header: Depth=1
	v_mov_b32_e32 v0, 1
	s_and_saveexec_b64 s[6:7], s[0:1]
	s_cbranch_execz .LBB0_160
; %bb.164:                              ;   in Loop: Header=BB0_163 Depth=1
	global_load_dword v0, v[10:11], off offset:20 glc
	s_waitcnt vmcnt(0)
	buffer_invl2
	buffer_wbinvl1_vol
	v_and_b32_e32 v0, 1, v0
	s_branch .LBB0_160
.LBB0_165:
	global_load_dwordx2 v[0:1], v[8:9], off
	s_and_saveexec_b64 s[6:7], s[0:1]
	s_cbranch_execz .LBB0_168
; %bb.166:
	v_mov_b32_e32 v8, 0
	global_load_dwordx2 v[6:7], v8, s[2:3] offset:40
	global_load_dwordx2 v[10:11], v8, s[2:3] offset:24 glc
	global_load_dwordx2 v[12:13], v8, s[2:3]
	v_mov_b32_e32 v3, s5
	s_mov_b64 s[0:1], 0
	s_waitcnt vmcnt(2)
	v_add_co_u32_e32 v5, vcc, 1, v6
	v_addc_co_u32_e32 v9, vcc, 0, v7, vcc
	v_add_co_u32_e32 v2, vcc, s4, v5
	v_addc_co_u32_e32 v3, vcc, v9, v3, vcc
	v_cmp_eq_u64_e32 vcc, 0, v[2:3]
	v_cndmask_b32_e32 v3, v3, v9, vcc
	v_cndmask_b32_e32 v2, v2, v5, vcc
	v_and_b32_e32 v5, v3, v7
	v_and_b32_e32 v6, v2, v6
	v_mul_lo_u32 v5, v5, 24
	v_mul_hi_u32 v7, v6, 24
	v_mul_lo_u32 v6, v6, 24
	v_add_u32_e32 v5, v7, v5
	s_waitcnt vmcnt(0)
	v_add_co_u32_e32 v6, vcc, v12, v6
	v_addc_co_u32_e32 v7, vcc, v13, v5, vcc
	v_mov_b32_e32 v4, v10
	global_store_dwordx2 v[6:7], v[10:11], off
	v_mov_b32_e32 v5, v11
	buffer_wbl2
	s_waitcnt vmcnt(0)
	global_atomic_cmpswap_x2 v[4:5], v8, v[2:5], s[2:3] offset:24 glc
	s_waitcnt vmcnt(0)
	v_cmp_ne_u64_e32 vcc, v[4:5], v[10:11]
	s_and_b64 exec, exec, vcc
	s_cbranch_execz .LBB0_168
.LBB0_167:                              ; =>This Inner Loop Header: Depth=1
	s_sleep 1
	global_store_dwordx2 v[6:7], v[4:5], off
	buffer_wbl2
	s_waitcnt vmcnt(0)
	global_atomic_cmpswap_x2 v[10:11], v8, v[2:5], s[2:3] offset:24 glc
	s_waitcnt vmcnt(0)
	v_cmp_eq_u64_e32 vcc, v[10:11], v[4:5]
	s_or_b64 s[0:1], vcc, s[0:1]
	v_pk_mov_b32 v[4:5], v[10:11], v[10:11] op_sel:[0,1]
	s_andn2_b64 exec, exec, s[0:1]
	s_cbranch_execnz .LBB0_167
.LBB0_168:
	s_or_b64 exec, exec, s[6:7]
	v_readfirstlane_b32 s0, v36
	v_cmp_eq_u32_e64 s[0:1], s0, v36
	v_pk_mov_b32 v[2:3], 0, 0
	s_and_saveexec_b64 s[4:5], s[0:1]
	s_cbranch_execz .LBB0_174
; %bb.169:
	v_mov_b32_e32 v4, 0
	global_load_dwordx2 v[8:9], v4, s[2:3] offset:24 glc
	s_waitcnt vmcnt(0)
	buffer_invl2
	buffer_wbinvl1_vol
	global_load_dwordx2 v[2:3], v4, s[2:3] offset:40
	global_load_dwordx2 v[6:7], v4, s[2:3]
	s_waitcnt vmcnt(1)
	v_and_b32_e32 v2, v2, v8
	v_and_b32_e32 v3, v3, v9
	v_mul_lo_u32 v3, v3, 24
	v_mul_hi_u32 v5, v2, 24
	v_mul_lo_u32 v2, v2, 24
	v_add_u32_e32 v3, v5, v3
	s_waitcnt vmcnt(0)
	v_add_co_u32_e32 v2, vcc, v6, v2
	v_addc_co_u32_e32 v3, vcc, v7, v3, vcc
	global_load_dwordx2 v[6:7], v[2:3], off glc
	s_waitcnt vmcnt(0)
	global_atomic_cmpswap_x2 v[2:3], v4, v[6:9], s[2:3] offset:24 glc
	s_waitcnt vmcnt(0)
	buffer_invl2
	buffer_wbinvl1_vol
	v_cmp_ne_u64_e32 vcc, v[2:3], v[8:9]
	s_and_saveexec_b64 s[6:7], vcc
	s_cbranch_execz .LBB0_173
; %bb.170:
	s_mov_b64 s[8:9], 0
.LBB0_171:                              ; =>This Inner Loop Header: Depth=1
	s_sleep 1
	global_load_dwordx2 v[6:7], v4, s[2:3] offset:40
	global_load_dwordx2 v[10:11], v4, s[2:3]
	v_pk_mov_b32 v[8:9], v[2:3], v[2:3] op_sel:[0,1]
	s_waitcnt vmcnt(1)
	v_and_b32_e32 v2, v6, v8
	s_waitcnt vmcnt(0)
	v_mad_u64_u32 v[2:3], s[10:11], v2, 24, v[10:11]
	v_and_b32_e32 v5, v7, v9
	v_mov_b32_e32 v6, v3
	v_mad_u64_u32 v[6:7], s[10:11], v5, 24, v[6:7]
	v_mov_b32_e32 v3, v6
	global_load_dwordx2 v[6:7], v[2:3], off glc
	s_waitcnt vmcnt(0)
	global_atomic_cmpswap_x2 v[2:3], v4, v[6:9], s[2:3] offset:24 glc
	s_waitcnt vmcnt(0)
	buffer_invl2
	buffer_wbinvl1_vol
	v_cmp_eq_u64_e32 vcc, v[2:3], v[8:9]
	s_or_b64 s[8:9], vcc, s[8:9]
	s_andn2_b64 exec, exec, s[8:9]
	s_cbranch_execnz .LBB0_171
; %bb.172:
	s_or_b64 exec, exec, s[8:9]
.LBB0_173:
	s_or_b64 exec, exec, s[6:7]
.LBB0_174:
	s_or_b64 exec, exec, s[4:5]
	v_mov_b32_e32 v10, 0
	global_load_dwordx2 v[8:9], v10, s[2:3] offset:40
	global_load_dwordx4 v[4:7], v10, s[2:3]
	v_readfirstlane_b32 s4, v2
	v_readfirstlane_b32 s5, v3
	s_mov_b64 s[6:7], exec
	s_waitcnt vmcnt(1)
	v_readfirstlane_b32 s8, v8
	v_readfirstlane_b32 s9, v9
	s_and_b64 s[8:9], s[4:5], s[8:9]
	s_mul_i32 s10, s9, 24
	s_mul_hi_u32 s11, s8, 24
	s_mul_i32 s12, s8, 24
	s_add_i32 s10, s11, s10
	v_mov_b32_e32 v2, s10
	s_waitcnt vmcnt(0)
	v_add_co_u32_e32 v8, vcc, s12, v4
	v_addc_co_u32_e32 v9, vcc, v5, v2, vcc
	s_and_saveexec_b64 s[10:11], s[0:1]
	s_cbranch_execz .LBB0_176
; %bb.175:
	v_pk_mov_b32 v[10:11], s[6:7], s[6:7] op_sel:[0,1]
	v_mov_b32_e32 v12, 2
	v_mov_b32_e32 v13, 1
	global_store_dwordx4 v[8:9], v[10:13], off offset:8
.LBB0_176:
	s_or_b64 exec, exec, s[10:11]
	s_lshl_b64 s[6:7], s[8:9], 12
	v_mov_b32_e32 v2, s7
	v_add_co_u32_e32 v10, vcc, s6, v6
	v_addc_co_u32_e32 v11, vcc, v7, v2, vcc
	s_movk_i32 s6, 0xff1f
	s_mov_b32 s8, 0
	v_and_or_b32 v0, v0, s6, 32
	v_cvt_f64_f32_e32 v[2:3], v38
	v_readfirstlane_b32 s6, v10
	v_readfirstlane_b32 s7, v11
	s_mov_b32 s9, s8
	v_add_co_u32_e32 v6, vcc, v10, v31
	s_mov_b32 s10, s8
	s_mov_b32 s11, s8
	s_nop 0
	global_store_dwordx4 v31, v[0:3], s[6:7]
	v_addc_co_u32_e32 v7, vcc, 0, v11, vcc
	v_pk_mov_b32 v[0:1], s[8:9], s[8:9] op_sel:[0,1]
	v_pk_mov_b32 v[2:3], s[10:11], s[10:11] op_sel:[0,1]
	global_store_dwordx4 v31, v[0:3], s[6:7] offset:16
	global_store_dwordx4 v31, v[0:3], s[6:7] offset:32
	;; [unrolled: 1-line block ×3, first 2 shown]
	s_and_saveexec_b64 s[6:7], s[0:1]
	s_cbranch_execz .LBB0_184
; %bb.177:
	v_mov_b32_e32 v10, 0
	global_load_dwordx2 v[14:15], v10, s[2:3] offset:32 glc
	global_load_dwordx2 v[0:1], v10, s[2:3] offset:40
	v_mov_b32_e32 v12, s4
	v_mov_b32_e32 v13, s5
	s_waitcnt vmcnt(0)
	v_readfirstlane_b32 s8, v0
	v_readfirstlane_b32 s9, v1
	s_and_b64 s[8:9], s[8:9], s[4:5]
	s_mul_i32 s9, s9, 24
	s_mul_hi_u32 s10, s8, 24
	s_mul_i32 s8, s8, 24
	s_add_i32 s9, s10, s9
	v_mov_b32_e32 v0, s9
	v_add_co_u32_e32 v4, vcc, s8, v4
	v_addc_co_u32_e32 v5, vcc, v5, v0, vcc
	global_store_dwordx2 v[4:5], v[14:15], off
	buffer_wbl2
	s_waitcnt vmcnt(0)
	global_atomic_cmpswap_x2 v[2:3], v10, v[12:15], s[2:3] offset:32 glc
	s_waitcnt vmcnt(0)
	v_cmp_ne_u64_e32 vcc, v[2:3], v[14:15]
	s_and_saveexec_b64 s[8:9], vcc
	s_cbranch_execz .LBB0_180
; %bb.178:
	s_mov_b64 s[10:11], 0
.LBB0_179:                              ; =>This Inner Loop Header: Depth=1
	s_sleep 1
	global_store_dwordx2 v[4:5], v[2:3], off
	v_mov_b32_e32 v0, s4
	v_mov_b32_e32 v1, s5
	buffer_wbl2
	s_waitcnt vmcnt(0)
	global_atomic_cmpswap_x2 v[0:1], v10, v[0:3], s[2:3] offset:32 glc
	s_waitcnt vmcnt(0)
	v_cmp_eq_u64_e32 vcc, v[0:1], v[2:3]
	s_or_b64 s[10:11], vcc, s[10:11]
	v_pk_mov_b32 v[2:3], v[0:1], v[0:1] op_sel:[0,1]
	s_andn2_b64 exec, exec, s[10:11]
	s_cbranch_execnz .LBB0_179
.LBB0_180:
	s_or_b64 exec, exec, s[8:9]
	v_mov_b32_e32 v3, 0
	global_load_dwordx2 v[0:1], v3, s[2:3] offset:16
	s_mov_b64 s[8:9], exec
	v_mbcnt_lo_u32_b32 v2, s8, 0
	v_mbcnt_hi_u32_b32 v2, s9, v2
	v_cmp_eq_u32_e32 vcc, 0, v2
	s_and_saveexec_b64 s[10:11], vcc
	s_cbranch_execz .LBB0_182
; %bb.181:
	s_bcnt1_i32_b64 s8, s[8:9]
	v_mov_b32_e32 v2, s8
	buffer_wbl2
	s_waitcnt vmcnt(0)
	global_atomic_add_x2 v[0:1], v[2:3], off offset:8
.LBB0_182:
	s_or_b64 exec, exec, s[10:11]
	s_waitcnt vmcnt(0)
	global_load_dwordx2 v[2:3], v[0:1], off offset:16
	s_waitcnt vmcnt(0)
	v_cmp_eq_u64_e32 vcc, 0, v[2:3]
	s_cbranch_vccnz .LBB0_184
; %bb.183:
	global_load_dword v0, v[0:1], off offset:24
	v_mov_b32_e32 v1, 0
	buffer_wbl2
	s_waitcnt vmcnt(0)
	global_store_dwordx2 v[2:3], v[0:1], off
	v_and_b32_e32 v0, 0xffffff, v0
	v_readfirstlane_b32 m0, v0
	s_sendmsg sendmsg(MSG_INTERRUPT)
.LBB0_184:
	s_or_b64 exec, exec, s[6:7]
	s_branch .LBB0_188
.LBB0_185:                              ;   in Loop: Header=BB0_188 Depth=1
	s_or_b64 exec, exec, s[6:7]
	v_readfirstlane_b32 s6, v0
	s_cmp_eq_u32 s6, 0
	s_cbranch_scc1 .LBB0_187
; %bb.186:                              ;   in Loop: Header=BB0_188 Depth=1
	s_sleep 1
	s_cbranch_execnz .LBB0_188
	s_branch .LBB0_190
.LBB0_187:
	s_branch .LBB0_190
.LBB0_188:                              ; =>This Inner Loop Header: Depth=1
	v_mov_b32_e32 v0, 1
	s_and_saveexec_b64 s[6:7], s[0:1]
	s_cbranch_execz .LBB0_185
; %bb.189:                              ;   in Loop: Header=BB0_188 Depth=1
	global_load_dword v0, v[8:9], off offset:20 glc
	s_waitcnt vmcnt(0)
	buffer_invl2
	buffer_wbinvl1_vol
	v_and_b32_e32 v0, 1, v0
	s_branch .LBB0_185
.LBB0_190:
	global_load_dwordx2 v[0:1], v[6:7], off
	s_and_saveexec_b64 s[6:7], s[0:1]
	s_cbranch_execz .LBB0_193
; %bb.191:
	v_mov_b32_e32 v8, 0
	global_load_dwordx2 v[6:7], v8, s[2:3] offset:40
	global_load_dwordx2 v[10:11], v8, s[2:3] offset:24 glc
	global_load_dwordx2 v[12:13], v8, s[2:3]
	v_mov_b32_e32 v3, s5
	s_mov_b64 s[0:1], 0
	s_waitcnt vmcnt(2)
	v_add_co_u32_e32 v5, vcc, 1, v6
	v_addc_co_u32_e32 v9, vcc, 0, v7, vcc
	v_add_co_u32_e32 v2, vcc, s4, v5
	v_addc_co_u32_e32 v3, vcc, v9, v3, vcc
	v_cmp_eq_u64_e32 vcc, 0, v[2:3]
	v_cndmask_b32_e32 v3, v3, v9, vcc
	v_cndmask_b32_e32 v2, v2, v5, vcc
	v_and_b32_e32 v5, v3, v7
	v_and_b32_e32 v6, v2, v6
	v_mul_lo_u32 v5, v5, 24
	v_mul_hi_u32 v7, v6, 24
	v_mul_lo_u32 v6, v6, 24
	v_add_u32_e32 v5, v7, v5
	s_waitcnt vmcnt(0)
	v_add_co_u32_e32 v6, vcc, v12, v6
	v_addc_co_u32_e32 v7, vcc, v13, v5, vcc
	v_mov_b32_e32 v4, v10
	global_store_dwordx2 v[6:7], v[10:11], off
	v_mov_b32_e32 v5, v11
	buffer_wbl2
	s_waitcnt vmcnt(0)
	global_atomic_cmpswap_x2 v[4:5], v8, v[2:5], s[2:3] offset:24 glc
	s_waitcnt vmcnt(0)
	v_cmp_ne_u64_e32 vcc, v[4:5], v[10:11]
	s_and_b64 exec, exec, vcc
	s_cbranch_execz .LBB0_193
.LBB0_192:                              ; =>This Inner Loop Header: Depth=1
	s_sleep 1
	global_store_dwordx2 v[6:7], v[4:5], off
	buffer_wbl2
	s_waitcnt vmcnt(0)
	global_atomic_cmpswap_x2 v[10:11], v8, v[2:5], s[2:3] offset:24 glc
	s_waitcnt vmcnt(0)
	v_cmp_eq_u64_e32 vcc, v[10:11], v[4:5]
	s_or_b64 s[0:1], vcc, s[0:1]
	v_pk_mov_b32 v[4:5], v[10:11], v[10:11] op_sel:[0,1]
	s_andn2_b64 exec, exec, s[0:1]
	s_cbranch_execnz .LBB0_192
.LBB0_193:
	s_or_b64 exec, exec, s[6:7]
	v_readfirstlane_b32 s0, v36
	v_cmp_eq_u32_e64 s[0:1], s0, v36
	v_pk_mov_b32 v[2:3], 0, 0
	s_and_saveexec_b64 s[4:5], s[0:1]
	s_cbranch_execz .LBB0_199
; %bb.194:
	v_mov_b32_e32 v4, 0
	global_load_dwordx2 v[8:9], v4, s[2:3] offset:24 glc
	s_waitcnt vmcnt(0)
	buffer_invl2
	buffer_wbinvl1_vol
	global_load_dwordx2 v[2:3], v4, s[2:3] offset:40
	global_load_dwordx2 v[6:7], v4, s[2:3]
	s_waitcnt vmcnt(1)
	v_and_b32_e32 v2, v2, v8
	v_and_b32_e32 v3, v3, v9
	v_mul_lo_u32 v3, v3, 24
	v_mul_hi_u32 v5, v2, 24
	v_mul_lo_u32 v2, v2, 24
	v_add_u32_e32 v3, v5, v3
	s_waitcnt vmcnt(0)
	v_add_co_u32_e32 v2, vcc, v6, v2
	v_addc_co_u32_e32 v3, vcc, v7, v3, vcc
	global_load_dwordx2 v[6:7], v[2:3], off glc
	s_waitcnt vmcnt(0)
	global_atomic_cmpswap_x2 v[2:3], v4, v[6:9], s[2:3] offset:24 glc
	s_waitcnt vmcnt(0)
	buffer_invl2
	buffer_wbinvl1_vol
	v_cmp_ne_u64_e32 vcc, v[2:3], v[8:9]
	s_and_saveexec_b64 s[6:7], vcc
	s_cbranch_execz .LBB0_198
; %bb.195:
	s_mov_b64 s[8:9], 0
.LBB0_196:                              ; =>This Inner Loop Header: Depth=1
	s_sleep 1
	global_load_dwordx2 v[6:7], v4, s[2:3] offset:40
	global_load_dwordx2 v[10:11], v4, s[2:3]
	v_pk_mov_b32 v[8:9], v[2:3], v[2:3] op_sel:[0,1]
	s_waitcnt vmcnt(1)
	v_and_b32_e32 v2, v6, v8
	s_waitcnt vmcnt(0)
	v_mad_u64_u32 v[2:3], s[10:11], v2, 24, v[10:11]
	v_and_b32_e32 v5, v7, v9
	v_mov_b32_e32 v6, v3
	v_mad_u64_u32 v[6:7], s[10:11], v5, 24, v[6:7]
	v_mov_b32_e32 v3, v6
	global_load_dwordx2 v[6:7], v[2:3], off glc
	s_waitcnt vmcnt(0)
	global_atomic_cmpswap_x2 v[2:3], v4, v[6:9], s[2:3] offset:24 glc
	s_waitcnt vmcnt(0)
	buffer_invl2
	buffer_wbinvl1_vol
	v_cmp_eq_u64_e32 vcc, v[2:3], v[8:9]
	s_or_b64 s[8:9], vcc, s[8:9]
	s_andn2_b64 exec, exec, s[8:9]
	s_cbranch_execnz .LBB0_196
; %bb.197:
	s_or_b64 exec, exec, s[8:9]
.LBB0_198:
	s_or_b64 exec, exec, s[6:7]
.LBB0_199:
	s_or_b64 exec, exec, s[4:5]
	v_mov_b32_e32 v10, 0
	global_load_dwordx2 v[8:9], v10, s[2:3] offset:40
	global_load_dwordx4 v[4:7], v10, s[2:3]
	v_readfirstlane_b32 s4, v2
	v_readfirstlane_b32 s5, v3
	s_mov_b64 s[6:7], exec
	s_waitcnt vmcnt(1)
	v_readfirstlane_b32 s8, v8
	v_readfirstlane_b32 s9, v9
	s_and_b64 s[8:9], s[4:5], s[8:9]
	s_mul_i32 s10, s9, 24
	s_mul_hi_u32 s11, s8, 24
	s_mul_i32 s12, s8, 24
	s_add_i32 s10, s11, s10
	v_mov_b32_e32 v2, s10
	s_waitcnt vmcnt(0)
	v_add_co_u32_e32 v8, vcc, s12, v4
	v_addc_co_u32_e32 v9, vcc, v5, v2, vcc
	s_and_saveexec_b64 s[10:11], s[0:1]
	s_cbranch_execz .LBB0_201
; %bb.200:
	v_pk_mov_b32 v[10:11], s[6:7], s[6:7] op_sel:[0,1]
	v_mov_b32_e32 v12, 2
	v_mov_b32_e32 v13, 1
	global_store_dwordx4 v[8:9], v[10:13], off offset:8
.LBB0_201:
	s_or_b64 exec, exec, s[10:11]
	s_lshl_b64 s[6:7], s[8:9], 12
	v_mov_b32_e32 v2, s7
	v_add_co_u32_e32 v10, vcc, s6, v6
	v_addc_co_u32_e32 v11, vcc, v7, v2, vcc
	s_movk_i32 s6, 0xff1f
	s_mov_b32 s8, 0
	v_and_or_b32 v0, v0, s6, 32
	v_cvt_f64_f32_e32 v[2:3], v37
	v_readfirstlane_b32 s6, v10
	v_readfirstlane_b32 s7, v11
	s_mov_b32 s9, s8
	v_add_co_u32_e32 v6, vcc, v10, v31
	s_mov_b32 s10, s8
	s_mov_b32 s11, s8
	s_nop 0
	global_store_dwordx4 v31, v[0:3], s[6:7]
	v_addc_co_u32_e32 v7, vcc, 0, v11, vcc
	v_pk_mov_b32 v[0:1], s[8:9], s[8:9] op_sel:[0,1]
	v_pk_mov_b32 v[2:3], s[10:11], s[10:11] op_sel:[0,1]
	global_store_dwordx4 v31, v[0:3], s[6:7] offset:16
	global_store_dwordx4 v31, v[0:3], s[6:7] offset:32
	;; [unrolled: 1-line block ×3, first 2 shown]
	s_and_saveexec_b64 s[6:7], s[0:1]
	s_cbranch_execz .LBB0_209
; %bb.202:
	v_mov_b32_e32 v10, 0
	global_load_dwordx2 v[14:15], v10, s[2:3] offset:32 glc
	global_load_dwordx2 v[0:1], v10, s[2:3] offset:40
	v_mov_b32_e32 v12, s4
	v_mov_b32_e32 v13, s5
	s_waitcnt vmcnt(0)
	v_readfirstlane_b32 s8, v0
	v_readfirstlane_b32 s9, v1
	s_and_b64 s[8:9], s[8:9], s[4:5]
	s_mul_i32 s9, s9, 24
	s_mul_hi_u32 s10, s8, 24
	s_mul_i32 s8, s8, 24
	s_add_i32 s9, s10, s9
	v_mov_b32_e32 v0, s9
	v_add_co_u32_e32 v4, vcc, s8, v4
	v_addc_co_u32_e32 v5, vcc, v5, v0, vcc
	global_store_dwordx2 v[4:5], v[14:15], off
	buffer_wbl2
	s_waitcnt vmcnt(0)
	global_atomic_cmpswap_x2 v[2:3], v10, v[12:15], s[2:3] offset:32 glc
	s_waitcnt vmcnt(0)
	v_cmp_ne_u64_e32 vcc, v[2:3], v[14:15]
	s_and_saveexec_b64 s[8:9], vcc
	s_cbranch_execz .LBB0_205
; %bb.203:
	s_mov_b64 s[10:11], 0
.LBB0_204:                              ; =>This Inner Loop Header: Depth=1
	s_sleep 1
	global_store_dwordx2 v[4:5], v[2:3], off
	v_mov_b32_e32 v0, s4
	v_mov_b32_e32 v1, s5
	buffer_wbl2
	s_waitcnt vmcnt(0)
	global_atomic_cmpswap_x2 v[0:1], v10, v[0:3], s[2:3] offset:32 glc
	s_waitcnt vmcnt(0)
	v_cmp_eq_u64_e32 vcc, v[0:1], v[2:3]
	s_or_b64 s[10:11], vcc, s[10:11]
	v_pk_mov_b32 v[2:3], v[0:1], v[0:1] op_sel:[0,1]
	s_andn2_b64 exec, exec, s[10:11]
	s_cbranch_execnz .LBB0_204
.LBB0_205:
	s_or_b64 exec, exec, s[8:9]
	v_mov_b32_e32 v3, 0
	global_load_dwordx2 v[0:1], v3, s[2:3] offset:16
	s_mov_b64 s[8:9], exec
	v_mbcnt_lo_u32_b32 v2, s8, 0
	v_mbcnt_hi_u32_b32 v2, s9, v2
	v_cmp_eq_u32_e32 vcc, 0, v2
	s_and_saveexec_b64 s[10:11], vcc
	s_cbranch_execz .LBB0_207
; %bb.206:
	s_bcnt1_i32_b64 s8, s[8:9]
	v_mov_b32_e32 v2, s8
	buffer_wbl2
	s_waitcnt vmcnt(0)
	global_atomic_add_x2 v[0:1], v[2:3], off offset:8
.LBB0_207:
	s_or_b64 exec, exec, s[10:11]
	s_waitcnt vmcnt(0)
	global_load_dwordx2 v[2:3], v[0:1], off offset:16
	s_waitcnt vmcnt(0)
	v_cmp_eq_u64_e32 vcc, 0, v[2:3]
	s_cbranch_vccnz .LBB0_209
; %bb.208:
	global_load_dword v0, v[0:1], off offset:24
	v_mov_b32_e32 v1, 0
	buffer_wbl2
	s_waitcnt vmcnt(0)
	global_store_dwordx2 v[2:3], v[0:1], off
	v_and_b32_e32 v0, 0xffffff, v0
	v_readfirstlane_b32 m0, v0
	s_sendmsg sendmsg(MSG_INTERRUPT)
.LBB0_209:
	s_or_b64 exec, exec, s[6:7]
	s_branch .LBB0_213
.LBB0_210:                              ;   in Loop: Header=BB0_213 Depth=1
	s_or_b64 exec, exec, s[6:7]
	v_readfirstlane_b32 s6, v0
	s_cmp_eq_u32 s6, 0
	s_cbranch_scc1 .LBB0_212
; %bb.211:                              ;   in Loop: Header=BB0_213 Depth=1
	s_sleep 1
	s_cbranch_execnz .LBB0_213
	s_branch .LBB0_215
.LBB0_212:
	s_branch .LBB0_215
.LBB0_213:                              ; =>This Inner Loop Header: Depth=1
	v_mov_b32_e32 v0, 1
	s_and_saveexec_b64 s[6:7], s[0:1]
	s_cbranch_execz .LBB0_210
; %bb.214:                              ;   in Loop: Header=BB0_213 Depth=1
	global_load_dword v0, v[8:9], off offset:20 glc
	s_waitcnt vmcnt(0)
	buffer_invl2
	buffer_wbinvl1_vol
	v_and_b32_e32 v0, 1, v0
	s_branch .LBB0_210
.LBB0_215:
	global_load_dwordx2 v[0:1], v[6:7], off
	s_and_saveexec_b64 s[6:7], s[0:1]
	s_cbranch_execz .LBB0_218
; %bb.216:
	v_mov_b32_e32 v8, 0
	global_load_dwordx2 v[6:7], v8, s[2:3] offset:40
	global_load_dwordx2 v[10:11], v8, s[2:3] offset:24 glc
	global_load_dwordx2 v[12:13], v8, s[2:3]
	v_mov_b32_e32 v3, s5
	s_mov_b64 s[0:1], 0
	s_waitcnt vmcnt(2)
	v_add_co_u32_e32 v5, vcc, 1, v6
	v_addc_co_u32_e32 v9, vcc, 0, v7, vcc
	v_add_co_u32_e32 v2, vcc, s4, v5
	v_addc_co_u32_e32 v3, vcc, v9, v3, vcc
	v_cmp_eq_u64_e32 vcc, 0, v[2:3]
	v_cndmask_b32_e32 v3, v3, v9, vcc
	v_cndmask_b32_e32 v2, v2, v5, vcc
	v_and_b32_e32 v5, v3, v7
	v_and_b32_e32 v6, v2, v6
	v_mul_lo_u32 v5, v5, 24
	v_mul_hi_u32 v7, v6, 24
	v_mul_lo_u32 v6, v6, 24
	v_add_u32_e32 v5, v7, v5
	s_waitcnt vmcnt(0)
	v_add_co_u32_e32 v6, vcc, v12, v6
	v_addc_co_u32_e32 v7, vcc, v13, v5, vcc
	v_mov_b32_e32 v4, v10
	global_store_dwordx2 v[6:7], v[10:11], off
	v_mov_b32_e32 v5, v11
	buffer_wbl2
	s_waitcnt vmcnt(0)
	global_atomic_cmpswap_x2 v[4:5], v8, v[2:5], s[2:3] offset:24 glc
	s_waitcnt vmcnt(0)
	v_cmp_ne_u64_e32 vcc, v[4:5], v[10:11]
	s_and_b64 exec, exec, vcc
	s_cbranch_execz .LBB0_218
.LBB0_217:                              ; =>This Inner Loop Header: Depth=1
	s_sleep 1
	global_store_dwordx2 v[6:7], v[4:5], off
	buffer_wbl2
	s_waitcnt vmcnt(0)
	global_atomic_cmpswap_x2 v[10:11], v8, v[2:5], s[2:3] offset:24 glc
	s_waitcnt vmcnt(0)
	v_cmp_eq_u64_e32 vcc, v[10:11], v[4:5]
	s_or_b64 s[0:1], vcc, s[0:1]
	v_pk_mov_b32 v[4:5], v[10:11], v[10:11] op_sel:[0,1]
	s_andn2_b64 exec, exec, s[0:1]
	s_cbranch_execnz .LBB0_217
.LBB0_218:
	s_or_b64 exec, exec, s[6:7]
	v_readfirstlane_b32 s0, v36
	v_cmp_eq_u32_e64 s[0:1], s0, v36
	v_pk_mov_b32 v[2:3], 0, 0
	s_and_saveexec_b64 s[4:5], s[0:1]
	s_cbranch_execz .LBB0_224
; %bb.219:
	v_mov_b32_e32 v4, 0
	global_load_dwordx2 v[8:9], v4, s[2:3] offset:24 glc
	s_waitcnt vmcnt(0)
	buffer_invl2
	buffer_wbinvl1_vol
	global_load_dwordx2 v[2:3], v4, s[2:3] offset:40
	global_load_dwordx2 v[6:7], v4, s[2:3]
	s_waitcnt vmcnt(1)
	v_and_b32_e32 v2, v2, v8
	v_and_b32_e32 v3, v3, v9
	v_mul_lo_u32 v3, v3, 24
	v_mul_hi_u32 v5, v2, 24
	v_mul_lo_u32 v2, v2, 24
	v_add_u32_e32 v3, v5, v3
	s_waitcnt vmcnt(0)
	v_add_co_u32_e32 v2, vcc, v6, v2
	v_addc_co_u32_e32 v3, vcc, v7, v3, vcc
	global_load_dwordx2 v[6:7], v[2:3], off glc
	s_waitcnt vmcnt(0)
	global_atomic_cmpswap_x2 v[2:3], v4, v[6:9], s[2:3] offset:24 glc
	s_waitcnt vmcnt(0)
	buffer_invl2
	buffer_wbinvl1_vol
	v_cmp_ne_u64_e32 vcc, v[2:3], v[8:9]
	s_and_saveexec_b64 s[6:7], vcc
	s_cbranch_execz .LBB0_223
; %bb.220:
	s_mov_b64 s[8:9], 0
.LBB0_221:                              ; =>This Inner Loop Header: Depth=1
	s_sleep 1
	global_load_dwordx2 v[6:7], v4, s[2:3] offset:40
	global_load_dwordx2 v[10:11], v4, s[2:3]
	v_pk_mov_b32 v[8:9], v[2:3], v[2:3] op_sel:[0,1]
	s_waitcnt vmcnt(1)
	v_and_b32_e32 v2, v6, v8
	s_waitcnt vmcnt(0)
	v_mad_u64_u32 v[2:3], s[10:11], v2, 24, v[10:11]
	v_and_b32_e32 v5, v7, v9
	v_mov_b32_e32 v6, v3
	v_mad_u64_u32 v[6:7], s[10:11], v5, 24, v[6:7]
	v_mov_b32_e32 v3, v6
	global_load_dwordx2 v[6:7], v[2:3], off glc
	s_waitcnt vmcnt(0)
	global_atomic_cmpswap_x2 v[2:3], v4, v[6:9], s[2:3] offset:24 glc
	s_waitcnt vmcnt(0)
	buffer_invl2
	buffer_wbinvl1_vol
	v_cmp_eq_u64_e32 vcc, v[2:3], v[8:9]
	s_or_b64 s[8:9], vcc, s[8:9]
	s_andn2_b64 exec, exec, s[8:9]
	s_cbranch_execnz .LBB0_221
; %bb.222:
	s_or_b64 exec, exec, s[8:9]
.LBB0_223:
	s_or_b64 exec, exec, s[6:7]
.LBB0_224:
	s_or_b64 exec, exec, s[4:5]
	v_mov_b32_e32 v10, 0
	global_load_dwordx2 v[8:9], v10, s[2:3] offset:40
	global_load_dwordx4 v[4:7], v10, s[2:3]
	v_readfirstlane_b32 s4, v2
	v_readfirstlane_b32 s5, v3
	s_mov_b64 s[6:7], exec
	s_waitcnt vmcnt(1)
	v_readfirstlane_b32 s8, v8
	v_readfirstlane_b32 s9, v9
	s_and_b64 s[8:9], s[4:5], s[8:9]
	s_mul_i32 s10, s9, 24
	s_mul_hi_u32 s11, s8, 24
	s_mul_i32 s12, s8, 24
	s_add_i32 s10, s11, s10
	v_mov_b32_e32 v2, s10
	s_waitcnt vmcnt(0)
	v_add_co_u32_e32 v8, vcc, s12, v4
	v_addc_co_u32_e32 v9, vcc, v5, v2, vcc
	s_and_saveexec_b64 s[10:11], s[0:1]
	s_cbranch_execz .LBB0_226
; %bb.225:
	v_pk_mov_b32 v[10:11], s[6:7], s[6:7] op_sel:[0,1]
	v_mov_b32_e32 v12, 2
	v_mov_b32_e32 v13, 1
	global_store_dwordx4 v[8:9], v[10:13], off offset:8
.LBB0_226:
	s_or_b64 exec, exec, s[10:11]
	s_lshl_b64 s[6:7], s[8:9], 12
	v_mov_b32_e32 v2, s7
	v_add_co_u32_e32 v6, vcc, s6, v6
	v_addc_co_u32_e32 v7, vcc, v7, v2, vcc
	s_movk_i32 s6, 0xff1d
	s_mov_b32 s8, 0
	v_and_or_b32 v0, v0, s6, 34
	v_cvt_f64_f32_e32 v[2:3], v29
	v_readfirstlane_b32 s6, v6
	v_readfirstlane_b32 s7, v7
	s_mov_b32 s9, s8
	s_mov_b32 s10, s8
	;; [unrolled: 1-line block ×3, first 2 shown]
	s_nop 1
	global_store_dwordx4 v31, v[0:3], s[6:7]
	s_nop 0
	v_pk_mov_b32 v[0:1], s[8:9], s[8:9] op_sel:[0,1]
	v_pk_mov_b32 v[2:3], s[10:11], s[10:11] op_sel:[0,1]
	global_store_dwordx4 v31, v[0:3], s[6:7] offset:16
	global_store_dwordx4 v31, v[0:3], s[6:7] offset:32
	;; [unrolled: 1-line block ×3, first 2 shown]
	s_and_saveexec_b64 s[6:7], s[0:1]
	s_cbranch_execz .LBB0_234
; %bb.227:
	v_mov_b32_e32 v6, 0
	global_load_dwordx2 v[12:13], v6, s[2:3] offset:32 glc
	global_load_dwordx2 v[0:1], v6, s[2:3] offset:40
	v_mov_b32_e32 v10, s4
	v_mov_b32_e32 v11, s5
	s_waitcnt vmcnt(0)
	v_readfirstlane_b32 s8, v0
	v_readfirstlane_b32 s9, v1
	s_and_b64 s[8:9], s[8:9], s[4:5]
	s_mul_i32 s9, s9, 24
	s_mul_hi_u32 s10, s8, 24
	s_mul_i32 s8, s8, 24
	s_add_i32 s9, s10, s9
	v_mov_b32_e32 v0, s9
	v_add_co_u32_e32 v4, vcc, s8, v4
	v_addc_co_u32_e32 v5, vcc, v5, v0, vcc
	global_store_dwordx2 v[4:5], v[12:13], off
	buffer_wbl2
	s_waitcnt vmcnt(0)
	global_atomic_cmpswap_x2 v[2:3], v6, v[10:13], s[2:3] offset:32 glc
	s_waitcnt vmcnt(0)
	v_cmp_ne_u64_e32 vcc, v[2:3], v[12:13]
	s_and_saveexec_b64 s[8:9], vcc
	s_cbranch_execz .LBB0_230
; %bb.228:
	s_mov_b64 s[10:11], 0
.LBB0_229:                              ; =>This Inner Loop Header: Depth=1
	s_sleep 1
	global_store_dwordx2 v[4:5], v[2:3], off
	v_mov_b32_e32 v0, s4
	v_mov_b32_e32 v1, s5
	buffer_wbl2
	s_waitcnt vmcnt(0)
	global_atomic_cmpswap_x2 v[0:1], v6, v[0:3], s[2:3] offset:32 glc
	s_waitcnt vmcnt(0)
	v_cmp_eq_u64_e32 vcc, v[0:1], v[2:3]
	s_or_b64 s[10:11], vcc, s[10:11]
	v_pk_mov_b32 v[2:3], v[0:1], v[0:1] op_sel:[0,1]
	s_andn2_b64 exec, exec, s[10:11]
	s_cbranch_execnz .LBB0_229
.LBB0_230:
	s_or_b64 exec, exec, s[8:9]
	v_mov_b32_e32 v3, 0
	global_load_dwordx2 v[0:1], v3, s[2:3] offset:16
	s_mov_b64 s[8:9], exec
	v_mbcnt_lo_u32_b32 v2, s8, 0
	v_mbcnt_hi_u32_b32 v2, s9, v2
	v_cmp_eq_u32_e32 vcc, 0, v2
	s_and_saveexec_b64 s[10:11], vcc
	s_cbranch_execz .LBB0_232
; %bb.231:
	s_bcnt1_i32_b64 s8, s[8:9]
	v_mov_b32_e32 v2, s8
	buffer_wbl2
	s_waitcnt vmcnt(0)
	global_atomic_add_x2 v[0:1], v[2:3], off offset:8
.LBB0_232:
	s_or_b64 exec, exec, s[10:11]
	s_waitcnt vmcnt(0)
	global_load_dwordx2 v[2:3], v[0:1], off offset:16
	s_waitcnt vmcnt(0)
	v_cmp_eq_u64_e32 vcc, 0, v[2:3]
	s_cbranch_vccnz .LBB0_234
; %bb.233:
	global_load_dword v0, v[0:1], off offset:24
	v_mov_b32_e32 v1, 0
	buffer_wbl2
	s_waitcnt vmcnt(0)
	global_store_dwordx2 v[2:3], v[0:1], off
	v_and_b32_e32 v0, 0xffffff, v0
	v_readfirstlane_b32 m0, v0
	s_sendmsg sendmsg(MSG_INTERRUPT)
.LBB0_234:
	s_or_b64 exec, exec, s[6:7]
	s_branch .LBB0_238
.LBB0_235:                              ;   in Loop: Header=BB0_238 Depth=1
	s_or_b64 exec, exec, s[6:7]
	v_readfirstlane_b32 s6, v0
	s_cmp_eq_u32 s6, 0
	s_cbranch_scc1 .LBB0_237
; %bb.236:                              ;   in Loop: Header=BB0_238 Depth=1
	s_sleep 1
	s_cbranch_execnz .LBB0_238
	s_branch .LBB0_240
.LBB0_237:
	s_branch .LBB0_240
.LBB0_238:                              ; =>This Inner Loop Header: Depth=1
	v_mov_b32_e32 v0, 1
	s_and_saveexec_b64 s[6:7], s[0:1]
	s_cbranch_execz .LBB0_235
; %bb.239:                              ;   in Loop: Header=BB0_238 Depth=1
	global_load_dword v0, v[8:9], off offset:20 glc
	s_waitcnt vmcnt(0)
	buffer_invl2
	buffer_wbinvl1_vol
	v_and_b32_e32 v0, 1, v0
	s_branch .LBB0_235
.LBB0_240:
	s_and_b64 exec, exec, s[0:1]
	s_cbranch_execz .LBB0_243
; %bb.241:
	v_mov_b32_e32 v6, 0
	global_load_dwordx2 v[4:5], v6, s[2:3] offset:40
	global_load_dwordx2 v[8:9], v6, s[2:3] offset:24 glc
	global_load_dwordx2 v[10:11], v6, s[2:3]
	v_mov_b32_e32 v1, s5
	s_mov_b64 s[0:1], 0
	s_waitcnt vmcnt(2)
	v_add_co_u32_e32 v3, vcc, 1, v4
	v_addc_co_u32_e32 v7, vcc, 0, v5, vcc
	v_add_co_u32_e32 v0, vcc, s4, v3
	v_addc_co_u32_e32 v1, vcc, v7, v1, vcc
	v_cmp_eq_u64_e32 vcc, 0, v[0:1]
	v_cndmask_b32_e32 v1, v1, v7, vcc
	v_cndmask_b32_e32 v0, v0, v3, vcc
	v_and_b32_e32 v3, v1, v5
	v_and_b32_e32 v4, v0, v4
	v_mul_lo_u32 v3, v3, 24
	v_mul_hi_u32 v5, v4, 24
	v_mul_lo_u32 v4, v4, 24
	v_add_u32_e32 v3, v5, v3
	s_waitcnt vmcnt(0)
	v_add_co_u32_e32 v4, vcc, v10, v4
	v_addc_co_u32_e32 v5, vcc, v11, v3, vcc
	v_mov_b32_e32 v2, v8
	global_store_dwordx2 v[4:5], v[8:9], off
	v_mov_b32_e32 v3, v9
	buffer_wbl2
	s_waitcnt vmcnt(0)
	global_atomic_cmpswap_x2 v[2:3], v6, v[0:3], s[2:3] offset:24 glc
	s_waitcnt vmcnt(0)
	v_cmp_ne_u64_e32 vcc, v[2:3], v[8:9]
	s_and_b64 exec, exec, vcc
	s_cbranch_execz .LBB0_243
.LBB0_242:                              ; =>This Inner Loop Header: Depth=1
	s_sleep 1
	global_store_dwordx2 v[4:5], v[2:3], off
	buffer_wbl2
	s_waitcnt vmcnt(0)
	global_atomic_cmpswap_x2 v[8:9], v6, v[0:3], s[2:3] offset:24 glc
	s_waitcnt vmcnt(0)
	v_cmp_eq_u64_e32 vcc, v[8:9], v[2:3]
	s_or_b64 s[0:1], vcc, s[0:1]
	v_pk_mov_b32 v[2:3], v[8:9], v[8:9] op_sel:[0,1]
	s_andn2_b64 exec, exec, s[0:1]
	s_cbranch_execnz .LBB0_242
.LBB0_243:
	s_endpgm
	.section	.rodata,"a",@progbits
	.p2align	6, 0x0
	.amdhsa_kernel _Z17check_correctnessP6__halfS0_S0_i
		.amdhsa_group_segment_fixed_size 0
		.amdhsa_private_segment_fixed_size 0
		.amdhsa_kernarg_size 288
		.amdhsa_user_sgpr_count 6
		.amdhsa_user_sgpr_private_segment_buffer 1
		.amdhsa_user_sgpr_dispatch_ptr 0
		.amdhsa_user_sgpr_queue_ptr 0
		.amdhsa_user_sgpr_kernarg_segment_ptr 1
		.amdhsa_user_sgpr_dispatch_id 0
		.amdhsa_user_sgpr_flat_scratch_init 0
		.amdhsa_user_sgpr_kernarg_preload_length 0
		.amdhsa_user_sgpr_kernarg_preload_offset 0
		.amdhsa_user_sgpr_private_segment_size 0
		.amdhsa_uses_dynamic_stack 0
		.amdhsa_system_sgpr_private_segment_wavefront_offset 0
		.amdhsa_system_sgpr_workgroup_id_x 1
		.amdhsa_system_sgpr_workgroup_id_y 0
		.amdhsa_system_sgpr_workgroup_id_z 0
		.amdhsa_system_sgpr_workgroup_info 0
		.amdhsa_system_vgpr_workitem_id 0
		.amdhsa_next_free_vgpr 39
		.amdhsa_next_free_sgpr 19
		.amdhsa_accum_offset 40
		.amdhsa_reserve_vcc 1
		.amdhsa_reserve_flat_scratch 0
		.amdhsa_float_round_mode_32 0
		.amdhsa_float_round_mode_16_64 0
		.amdhsa_float_denorm_mode_32 3
		.amdhsa_float_denorm_mode_16_64 3
		.amdhsa_dx10_clamp 1
		.amdhsa_ieee_mode 1
		.amdhsa_fp16_overflow 0
		.amdhsa_tg_split 0
		.amdhsa_exception_fp_ieee_invalid_op 0
		.amdhsa_exception_fp_denorm_src 0
		.amdhsa_exception_fp_ieee_div_zero 0
		.amdhsa_exception_fp_ieee_overflow 0
		.amdhsa_exception_fp_ieee_underflow 0
		.amdhsa_exception_fp_ieee_inexact 0
		.amdhsa_exception_int_div_zero 0
	.end_amdhsa_kernel
	.text
.Lfunc_end0:
	.size	_Z17check_correctnessP6__halfS0_S0_i, .Lfunc_end0-_Z17check_correctnessP6__halfS0_S0_i
                                        ; -- End function
	.section	.AMDGPU.csdata,"",@progbits
; Kernel info:
; codeLenInByte = 10076
; NumSgprs: 23
; NumVgprs: 39
; NumAgprs: 0
; TotalNumVgprs: 39
; ScratchSize: 0
; MemoryBound: 0
; FloatMode: 240
; IeeeMode: 1
; LDSByteSize: 0 bytes/workgroup (compile time only)
; SGPRBlocks: 2
; VGPRBlocks: 4
; NumSGPRsForWavesPerEU: 23
; NumVGPRsForWavesPerEU: 39
; AccumOffset: 40
; Occupancy: 8
; WaveLimiterHint : 1
; COMPUTE_PGM_RSRC2:SCRATCH_EN: 0
; COMPUTE_PGM_RSRC2:USER_SGPR: 6
; COMPUTE_PGM_RSRC2:TRAP_HANDLER: 0
; COMPUTE_PGM_RSRC2:TGID_X_EN: 1
; COMPUTE_PGM_RSRC2:TGID_Y_EN: 0
; COMPUTE_PGM_RSRC2:TGID_Z_EN: 0
; COMPUTE_PGM_RSRC2:TIDIG_COMP_CNT: 0
; COMPUTE_PGM_RSRC3_GFX90A:ACCUM_OFFSET: 9
; COMPUTE_PGM_RSRC3_GFX90A:TG_SPLIT: 0
	.text
	.protected	_Z32check_int8_quantized_correctnessPaP6__halfS1_S0_S0_i ; -- Begin function _Z32check_int8_quantized_correctnessPaP6__halfS1_S0_S0_i
	.globl	_Z32check_int8_quantized_correctnessPaP6__halfS1_S0_S0_i
	.p2align	8
	.type	_Z32check_int8_quantized_correctnessPaP6__halfS1_S0_S0_i,@function
_Z32check_int8_quantized_correctnessPaP6__halfS1_S0_S0_i: ; @_Z32check_int8_quantized_correctnessPaP6__halfS1_S0_S0_i
; %bb.0:
	s_load_dword s0, s[4:5], 0x2c
	s_load_dword s10, s[4:5], 0x1c
	s_add_u32 s8, s4, 32
	s_addc_u32 s9, s5, 0
	s_waitcnt lgkmcnt(0)
	s_and_b32 s0, s0, 0xffff
	s_mul_i32 s6, s6, s0
	v_add_u32_e32 v28, s6, v0
	v_cmp_gt_i32_e32 vcc, s10, v28
	s_and_saveexec_b64 s[0:1], vcc
	s_cbranch_execz .LBB1_243
; %bb.1:
	s_load_dwordx4 s[0:3], s[4:5], 0x0
	s_load_dwordx2 s[6:7], s[4:5], 0x10
	s_cmp_lt_i32 s10, 1
	s_cbranch_scc1 .LBB1_4
; %bb.2:
	v_mov_b32_e32 v2, 0
	global_load_dword v0, v2, s[4:5] offset:24
	v_mul_lo_u32 v1, v28, s10
	s_waitcnt lgkmcnt(0)
	v_mov_b32_e32 v5, s1
	v_ashrrev_i32_e32 v6, 31, v1
	v_mov_b32_e32 v37, 0
	s_waitcnt vmcnt(0)
	v_cvt_f32_f16_sdwa v3, v0 dst_sel:DWORD dst_unused:UNUSED_PAD src0_sel:WORD_1
	v_cvt_f32_f16_e32 v4, v0
	v_add_co_u32_e32 v0, vcc, s0, v1
	v_addc_co_u32_e32 v1, vcc, v5, v6, vcc
	s_mov_b32 s0, s10
.LBB1_3:                                ; =>This Inner Loop Header: Depth=1
	global_load_sbyte v5, v[0:1], off
	global_load_ushort v6, v2, s[2:3]
	s_add_i32 s0, s0, -1
	s_add_u32 s2, s2, 2
	v_add_co_u32_e32 v0, vcc, 1, v0
	s_addc_u32 s3, s3, 0
	v_addc_co_u32_e32 v1, vcc, 0, v1, vcc
	s_cmp_eq_u32 s0, 0
	s_waitcnt vmcnt(1)
	v_cvt_f32_i32_e32 v5, v5
	v_sub_f32_e32 v5, v5, v3
	v_mul_f32_e32 v5, v5, v4
	s_waitcnt vmcnt(0)
	v_fma_mix_f32 v37, v5, v6, v37 op_sel_hi:[0,1,0]
	s_cbranch_scc0 .LBB1_3
	s_branch .LBB1_5
.LBB1_4:
	v_mov_b32_e32 v37, 0
.LBB1_5:
	v_ashrrev_i32_e32 v29, 31, v28
	v_lshlrev_b64 v[0:1], 1, v[28:29]
	s_waitcnt lgkmcnt(0)
	v_mov_b32_e32 v2, s7
	v_add_co_u32_e32 v0, vcc, s6, v0
	v_addc_co_u32_e32 v1, vcc, v2, v1, vcc
	global_load_ushort v2, v[0:1], off
	v_cvt_f64_i32_e32 v[0:1], s10
	v_ldexp_f64 v[0:1], v[0:1], -3
	v_ldexp_f64 v[0:1], v[0:1], -9
	v_cvt_f32_f64_e32 v0, v[0:1]
	s_waitcnt vmcnt(0)
	v_cvt_f32_f16_e32 v38, v2
	v_sub_f32_e32 v29, v37, v38
	v_cmp_gt_f32_e32 vcc, v29, v0
	v_cmp_lt_f32_e64 s[0:1], v29, -v0
	s_or_b64 s[0:1], vcc, s[0:1]
	s_and_b64 exec, exec, s[0:1]
	s_cbranch_execz .LBB1_243
; %bb.6:
	s_load_dwordx2 s[2:3], s[8:9], 0x50
	v_mbcnt_lo_u32_b32 v0, -1, 0
	v_mbcnt_hi_u32_b32 v36, -1, v0
	v_readfirstlane_b32 s0, v36
	v_cmp_eq_u32_e64 s[0:1], s0, v36
	v_pk_mov_b32 v[6:7], 0, 0
	s_and_saveexec_b64 s[4:5], s[0:1]
	s_cbranch_execz .LBB1_12
; %bb.7:
	v_mov_b32_e32 v0, 0
	s_waitcnt lgkmcnt(0)
	global_load_dwordx2 v[4:5], v0, s[2:3] offset:24 glc
	s_waitcnt vmcnt(0)
	buffer_invl2
	buffer_wbinvl1_vol
	global_load_dwordx2 v[2:3], v0, s[2:3] offset:40
	global_load_dwordx2 v[6:7], v0, s[2:3]
	s_waitcnt vmcnt(1)
	v_and_b32_e32 v1, v2, v4
	v_and_b32_e32 v2, v3, v5
	v_mul_lo_u32 v2, v2, 24
	v_mul_hi_u32 v3, v1, 24
	v_mul_lo_u32 v1, v1, 24
	v_add_u32_e32 v3, v3, v2
	s_waitcnt vmcnt(0)
	v_add_co_u32_e32 v2, vcc, v6, v1
	v_addc_co_u32_e32 v3, vcc, v7, v3, vcc
	global_load_dwordx2 v[2:3], v[2:3], off glc
	s_waitcnt vmcnt(0)
	global_atomic_cmpswap_x2 v[6:7], v0, v[2:5], s[2:3] offset:24 glc
	s_waitcnt vmcnt(0)
	buffer_invl2
	buffer_wbinvl1_vol
	v_cmp_ne_u64_e32 vcc, v[6:7], v[4:5]
	s_and_saveexec_b64 s[6:7], vcc
	s_cbranch_execz .LBB1_11
; %bb.8:
	s_mov_b64 s[8:9], 0
.LBB1_9:                                ; =>This Inner Loop Header: Depth=1
	s_sleep 1
	global_load_dwordx2 v[2:3], v0, s[2:3] offset:40
	global_load_dwordx2 v[8:9], v0, s[2:3]
	v_pk_mov_b32 v[4:5], v[6:7], v[6:7] op_sel:[0,1]
	s_waitcnt vmcnt(1)
	v_and_b32_e32 v2, v2, v4
	v_and_b32_e32 v1, v3, v5
	s_waitcnt vmcnt(0)
	v_mad_u64_u32 v[2:3], s[10:11], v2, 24, v[8:9]
	v_mov_b32_e32 v6, v3
	v_mad_u64_u32 v[6:7], s[10:11], v1, 24, v[6:7]
	v_mov_b32_e32 v3, v6
	global_load_dwordx2 v[2:3], v[2:3], off glc
	s_waitcnt vmcnt(0)
	global_atomic_cmpswap_x2 v[6:7], v0, v[2:5], s[2:3] offset:24 glc
	s_waitcnt vmcnt(0)
	buffer_invl2
	buffer_wbinvl1_vol
	v_cmp_eq_u64_e32 vcc, v[6:7], v[4:5]
	s_or_b64 s[8:9], vcc, s[8:9]
	s_andn2_b64 exec, exec, s[8:9]
	s_cbranch_execnz .LBB1_9
; %bb.10:
	s_or_b64 exec, exec, s[8:9]
.LBB1_11:
	s_or_b64 exec, exec, s[6:7]
.LBB1_12:
	s_or_b64 exec, exec, s[4:5]
	v_mov_b32_e32 v5, 0
	s_waitcnt lgkmcnt(0)
	global_load_dwordx2 v[8:9], v5, s[2:3] offset:40
	global_load_dwordx4 v[0:3], v5, s[2:3]
	v_readfirstlane_b32 s4, v6
	v_readfirstlane_b32 s5, v7
	s_mov_b64 s[6:7], exec
	s_waitcnt vmcnt(1)
	v_readfirstlane_b32 s8, v8
	v_readfirstlane_b32 s9, v9
	s_and_b64 s[8:9], s[4:5], s[8:9]
	s_mul_i32 s10, s9, 24
	s_mul_hi_u32 s11, s8, 24
	s_mul_i32 s12, s8, 24
	s_add_i32 s10, s11, s10
	v_mov_b32_e32 v4, s10
	s_waitcnt vmcnt(0)
	v_add_co_u32_e32 v8, vcc, s12, v0
	v_addc_co_u32_e32 v9, vcc, v1, v4, vcc
	s_and_saveexec_b64 s[10:11], s[0:1]
	s_cbranch_execz .LBB1_14
; %bb.13:
	v_pk_mov_b32 v[10:11], s[6:7], s[6:7] op_sel:[0,1]
	v_mov_b32_e32 v12, 2
	v_mov_b32_e32 v13, 1
	global_store_dwordx4 v[8:9], v[10:13], off offset:8
.LBB1_14:
	s_or_b64 exec, exec, s[10:11]
	s_lshl_b64 s[6:7], s[8:9], 12
	v_mov_b32_e32 v4, s7
	v_add_co_u32_e32 v2, vcc, s6, v2
	v_addc_co_u32_e32 v3, vcc, v3, v4, vcc
	s_mov_b32 s8, 0
	v_lshlrev_b32_e32 v31, 6, v36
	v_add_co_u32_e32 v10, vcc, v2, v31
	v_mov_b32_e32 v4, 33
	v_mov_b32_e32 v6, v5
	;; [unrolled: 1-line block ×3, first 2 shown]
	v_readfirstlane_b32 s6, v2
	v_readfirstlane_b32 s7, v3
	s_mov_b32 s9, s8
	v_addc_co_u32_e32 v11, vcc, 0, v3, vcc
	s_mov_b32 s10, s8
	s_mov_b32 s11, s8
	s_nop 0
	global_store_dwordx4 v31, v[4:7], s[6:7]
	v_pk_mov_b32 v[2:3], s[8:9], s[8:9] op_sel:[0,1]
	v_pk_mov_b32 v[4:5], s[10:11], s[10:11] op_sel:[0,1]
	global_store_dwordx4 v31, v[2:5], s[6:7] offset:16
	global_store_dwordx4 v31, v[2:5], s[6:7] offset:32
	;; [unrolled: 1-line block ×3, first 2 shown]
	s_and_saveexec_b64 s[6:7], s[0:1]
	s_cbranch_execz .LBB1_22
; %bb.15:
	v_mov_b32_e32 v6, 0
	global_load_dwordx2 v[14:15], v6, s[2:3] offset:32 glc
	global_load_dwordx2 v[2:3], v6, s[2:3] offset:40
	v_mov_b32_e32 v12, s4
	v_mov_b32_e32 v13, s5
	s_waitcnt vmcnt(0)
	v_and_b32_e32 v2, s4, v2
	v_and_b32_e32 v3, s5, v3
	v_mul_lo_u32 v3, v3, 24
	v_mul_hi_u32 v4, v2, 24
	v_mul_lo_u32 v2, v2, 24
	v_add_u32_e32 v3, v4, v3
	v_add_co_u32_e32 v4, vcc, v0, v2
	v_addc_co_u32_e32 v5, vcc, v1, v3, vcc
	global_store_dwordx2 v[4:5], v[14:15], off
	buffer_wbl2
	s_waitcnt vmcnt(0)
	global_atomic_cmpswap_x2 v[2:3], v6, v[12:15], s[2:3] offset:32 glc
	s_waitcnt vmcnt(0)
	v_cmp_ne_u64_e32 vcc, v[2:3], v[14:15]
	s_and_saveexec_b64 s[8:9], vcc
	s_cbranch_execz .LBB1_18
; %bb.16:
	s_mov_b64 s[10:11], 0
.LBB1_17:                               ; =>This Inner Loop Header: Depth=1
	s_sleep 1
	global_store_dwordx2 v[4:5], v[2:3], off
	v_mov_b32_e32 v0, s4
	v_mov_b32_e32 v1, s5
	buffer_wbl2
	s_waitcnt vmcnt(0)
	global_atomic_cmpswap_x2 v[0:1], v6, v[0:3], s[2:3] offset:32 glc
	s_waitcnt vmcnt(0)
	v_cmp_eq_u64_e32 vcc, v[0:1], v[2:3]
	s_or_b64 s[10:11], vcc, s[10:11]
	v_pk_mov_b32 v[2:3], v[0:1], v[0:1] op_sel:[0,1]
	s_andn2_b64 exec, exec, s[10:11]
	s_cbranch_execnz .LBB1_17
.LBB1_18:
	s_or_b64 exec, exec, s[8:9]
	v_mov_b32_e32 v3, 0
	global_load_dwordx2 v[0:1], v3, s[2:3] offset:16
	s_mov_b64 s[8:9], exec
	v_mbcnt_lo_u32_b32 v2, s8, 0
	v_mbcnt_hi_u32_b32 v2, s9, v2
	v_cmp_eq_u32_e32 vcc, 0, v2
	s_and_saveexec_b64 s[10:11], vcc
	s_cbranch_execz .LBB1_20
; %bb.19:
	s_bcnt1_i32_b64 s8, s[8:9]
	v_mov_b32_e32 v2, s8
	buffer_wbl2
	s_waitcnt vmcnt(0)
	global_atomic_add_x2 v[0:1], v[2:3], off offset:8
.LBB1_20:
	s_or_b64 exec, exec, s[10:11]
	s_waitcnt vmcnt(0)
	global_load_dwordx2 v[2:3], v[0:1], off offset:16
	s_waitcnt vmcnt(0)
	v_cmp_eq_u64_e32 vcc, 0, v[2:3]
	s_cbranch_vccnz .LBB1_22
; %bb.21:
	global_load_dword v0, v[0:1], off offset:24
	v_mov_b32_e32 v1, 0
	buffer_wbl2
	s_waitcnt vmcnt(0)
	global_store_dwordx2 v[2:3], v[0:1], off
	v_and_b32_e32 v0, 0xffffff, v0
	v_readfirstlane_b32 m0, v0
	s_sendmsg sendmsg(MSG_INTERRUPT)
.LBB1_22:
	s_or_b64 exec, exec, s[6:7]
	s_branch .LBB1_26
.LBB1_23:                               ;   in Loop: Header=BB1_26 Depth=1
	s_or_b64 exec, exec, s[6:7]
	v_readfirstlane_b32 s6, v0
	s_cmp_eq_u32 s6, 0
	s_cbranch_scc1 .LBB1_25
; %bb.24:                               ;   in Loop: Header=BB1_26 Depth=1
	s_sleep 1
	s_cbranch_execnz .LBB1_26
	s_branch .LBB1_28
.LBB1_25:
	s_branch .LBB1_28
.LBB1_26:                               ; =>This Inner Loop Header: Depth=1
	v_mov_b32_e32 v0, 1
	s_and_saveexec_b64 s[6:7], s[0:1]
	s_cbranch_execz .LBB1_23
; %bb.27:                               ;   in Loop: Header=BB1_26 Depth=1
	global_load_dword v0, v[8:9], off offset:20 glc
	s_waitcnt vmcnt(0)
	buffer_invl2
	buffer_wbinvl1_vol
	v_and_b32_e32 v0, 1, v0
	s_branch .LBB1_23
.LBB1_28:
	global_load_dwordx2 v[0:1], v[10:11], off
	s_and_saveexec_b64 s[6:7], s[0:1]
	s_cbranch_execz .LBB1_31
; %bb.29:
	v_mov_b32_e32 v8, 0
	global_load_dwordx2 v[6:7], v8, s[2:3] offset:40
	global_load_dwordx2 v[10:11], v8, s[2:3] offset:24 glc
	global_load_dwordx2 v[12:13], v8, s[2:3]
	v_mov_b32_e32 v3, s5
	s_mov_b64 s[0:1], 0
	s_waitcnt vmcnt(2)
	v_add_co_u32_e32 v5, vcc, 1, v6
	v_addc_co_u32_e32 v9, vcc, 0, v7, vcc
	v_add_co_u32_e32 v2, vcc, s4, v5
	v_addc_co_u32_e32 v3, vcc, v9, v3, vcc
	v_cmp_eq_u64_e32 vcc, 0, v[2:3]
	v_cndmask_b32_e32 v3, v3, v9, vcc
	v_cndmask_b32_e32 v2, v2, v5, vcc
	v_and_b32_e32 v5, v3, v7
	v_and_b32_e32 v6, v2, v6
	v_mul_lo_u32 v5, v5, 24
	v_mul_hi_u32 v7, v6, 24
	v_mul_lo_u32 v6, v6, 24
	v_add_u32_e32 v5, v7, v5
	s_waitcnt vmcnt(0)
	v_add_co_u32_e32 v6, vcc, v12, v6
	v_addc_co_u32_e32 v7, vcc, v13, v5, vcc
	v_mov_b32_e32 v4, v10
	global_store_dwordx2 v[6:7], v[10:11], off
	v_mov_b32_e32 v5, v11
	buffer_wbl2
	s_waitcnt vmcnt(0)
	global_atomic_cmpswap_x2 v[4:5], v8, v[2:5], s[2:3] offset:24 glc
	s_waitcnt vmcnt(0)
	v_cmp_ne_u64_e32 vcc, v[4:5], v[10:11]
	s_and_b64 exec, exec, vcc
	s_cbranch_execz .LBB1_31
.LBB1_30:                               ; =>This Inner Loop Header: Depth=1
	s_sleep 1
	global_store_dwordx2 v[6:7], v[4:5], off
	buffer_wbl2
	s_waitcnt vmcnt(0)
	global_atomic_cmpswap_x2 v[10:11], v8, v[2:5], s[2:3] offset:24 glc
	s_waitcnt vmcnt(0)
	v_cmp_eq_u64_e32 vcc, v[10:11], v[4:5]
	s_or_b64 s[0:1], vcc, s[0:1]
	v_pk_mov_b32 v[4:5], v[10:11], v[10:11] op_sel:[0,1]
	s_andn2_b64 exec, exec, s[0:1]
	s_cbranch_execnz .LBB1_30
.LBB1_31:
	s_or_b64 exec, exec, s[6:7]
	s_getpc_b64 s[4:5]
	s_add_u32 s4, s4, .str@rel32@lo+4
	s_addc_u32 s5, s5, .str@rel32@hi+12
	s_cmp_lg_u64 s[4:5], 0
	s_cbranch_scc0 .LBB1_116
; %bb.32:
	s_waitcnt vmcnt(0)
	v_and_b32_e32 v30, 2, v0
	v_mov_b32_e32 v33, 0
	v_and_b32_e32 v2, -3, v0
	v_mov_b32_e32 v3, v1
	s_mov_b64 s[6:7], 31
	v_mov_b32_e32 v6, 2
	v_mov_b32_e32 v7, 1
	s_branch .LBB1_34
.LBB1_33:                               ;   in Loop: Header=BB1_34 Depth=1
	s_or_b64 exec, exec, s[12:13]
	s_sub_u32 s6, s6, s8
	s_subb_u32 s7, s7, s9
	s_add_u32 s4, s4, s8
	s_addc_u32 s5, s5, s9
	s_cmp_lg_u64 s[6:7], 0
	s_cbranch_scc0 .LBB1_115
.LBB1_34:                               ; =>This Loop Header: Depth=1
                                        ;     Child Loop BB1_37 Depth 2
                                        ;     Child Loop BB1_44 Depth 2
	;; [unrolled: 1-line block ×11, first 2 shown]
	v_cmp_lt_u64_e64 s[0:1], s[6:7], 56
	s_and_b64 s[0:1], s[0:1], exec
	v_cmp_gt_u64_e64 s[0:1], s[6:7], 7
	s_cselect_b32 s9, s7, 0
	s_cselect_b32 s8, s6, 56
	s_and_b64 vcc, exec, s[0:1]
	s_cbranch_vccnz .LBB1_39
; %bb.35:                               ;   in Loop: Header=BB1_34 Depth=1
	s_mov_b64 s[0:1], 0
	s_cmp_eq_u64 s[6:7], 0
	v_pk_mov_b32 v[10:11], 0, 0
	s_cbranch_scc1 .LBB1_38
; %bb.36:                               ;   in Loop: Header=BB1_34 Depth=1
	s_lshl_b64 s[10:11], s[8:9], 3
	s_mov_b64 s[12:13], 0
	v_pk_mov_b32 v[10:11], 0, 0
	s_mov_b64 s[14:15], s[4:5]
.LBB1_37:                               ;   Parent Loop BB1_34 Depth=1
                                        ; =>  This Inner Loop Header: Depth=2
	global_load_ubyte v4, v33, s[14:15]
	s_waitcnt vmcnt(0)
	v_and_b32_e32 v32, 0xffff, v4
	v_lshlrev_b64 v[4:5], s12, v[32:33]
	s_add_u32 s12, s12, 8
	s_addc_u32 s13, s13, 0
	s_add_u32 s14, s14, 1
	s_addc_u32 s15, s15, 0
	v_or_b32_e32 v10, v4, v10
	s_cmp_lg_u32 s10, s12
	v_or_b32_e32 v11, v5, v11
	s_cbranch_scc1 .LBB1_37
.LBB1_38:                               ;   in Loop: Header=BB1_34 Depth=1
	s_mov_b32 s14, 0
	s_andn2_b64 vcc, exec, s[0:1]
	s_mov_b64 s[0:1], s[4:5]
	s_cbranch_vccz .LBB1_40
	s_branch .LBB1_41
.LBB1_39:                               ;   in Loop: Header=BB1_34 Depth=1
                                        ; implicit-def: $vgpr10_vgpr11
                                        ; implicit-def: $sgpr14
	s_mov_b64 s[0:1], s[4:5]
.LBB1_40:                               ;   in Loop: Header=BB1_34 Depth=1
	global_load_dwordx2 v[10:11], v33, s[4:5]
	s_add_i32 s14, s8, -8
	s_add_u32 s0, s4, 8
	s_addc_u32 s1, s5, 0
.LBB1_41:                               ;   in Loop: Header=BB1_34 Depth=1
	s_cmp_gt_u32 s14, 7
	s_cbranch_scc1 .LBB1_45
; %bb.42:                               ;   in Loop: Header=BB1_34 Depth=1
	s_cmp_eq_u32 s14, 0
	s_cbranch_scc1 .LBB1_46
; %bb.43:                               ;   in Loop: Header=BB1_34 Depth=1
	s_mov_b64 s[10:11], 0
	v_pk_mov_b32 v[12:13], 0, 0
	s_mov_b64 s[12:13], 0
.LBB1_44:                               ;   Parent Loop BB1_34 Depth=1
                                        ; =>  This Inner Loop Header: Depth=2
	s_add_u32 s16, s0, s12
	s_addc_u32 s17, s1, s13
	global_load_ubyte v4, v33, s[16:17]
	s_add_u32 s12, s12, 1
	s_addc_u32 s13, s13, 0
	s_waitcnt vmcnt(0)
	v_and_b32_e32 v32, 0xffff, v4
	v_lshlrev_b64 v[4:5], s10, v[32:33]
	s_add_u32 s10, s10, 8
	s_addc_u32 s11, s11, 0
	v_or_b32_e32 v12, v4, v12
	s_cmp_lg_u32 s14, s12
	v_or_b32_e32 v13, v5, v13
	s_cbranch_scc1 .LBB1_44
	s_branch .LBB1_47
.LBB1_45:                               ;   in Loop: Header=BB1_34 Depth=1
                                        ; implicit-def: $vgpr12_vgpr13
                                        ; implicit-def: $sgpr15
	s_branch .LBB1_48
.LBB1_46:                               ;   in Loop: Header=BB1_34 Depth=1
	v_pk_mov_b32 v[12:13], 0, 0
.LBB1_47:                               ;   in Loop: Header=BB1_34 Depth=1
	s_mov_b32 s15, 0
	s_cbranch_execnz .LBB1_49
.LBB1_48:                               ;   in Loop: Header=BB1_34 Depth=1
	global_load_dwordx2 v[12:13], v33, s[0:1]
	s_add_i32 s15, s14, -8
	s_add_u32 s0, s0, 8
	s_addc_u32 s1, s1, 0
.LBB1_49:                               ;   in Loop: Header=BB1_34 Depth=1
	s_cmp_gt_u32 s15, 7
	s_cbranch_scc1 .LBB1_53
; %bb.50:                               ;   in Loop: Header=BB1_34 Depth=1
	s_cmp_eq_u32 s15, 0
	s_cbranch_scc1 .LBB1_54
; %bb.51:                               ;   in Loop: Header=BB1_34 Depth=1
	s_mov_b64 s[10:11], 0
	v_pk_mov_b32 v[14:15], 0, 0
	s_mov_b64 s[12:13], 0
.LBB1_52:                               ;   Parent Loop BB1_34 Depth=1
                                        ; =>  This Inner Loop Header: Depth=2
	s_add_u32 s16, s0, s12
	s_addc_u32 s17, s1, s13
	global_load_ubyte v4, v33, s[16:17]
	s_add_u32 s12, s12, 1
	s_addc_u32 s13, s13, 0
	s_waitcnt vmcnt(0)
	v_and_b32_e32 v32, 0xffff, v4
	v_lshlrev_b64 v[4:5], s10, v[32:33]
	s_add_u32 s10, s10, 8
	s_addc_u32 s11, s11, 0
	v_or_b32_e32 v14, v4, v14
	s_cmp_lg_u32 s15, s12
	v_or_b32_e32 v15, v5, v15
	s_cbranch_scc1 .LBB1_52
	s_branch .LBB1_55
.LBB1_53:                               ;   in Loop: Header=BB1_34 Depth=1
                                        ; implicit-def: $sgpr14
	s_branch .LBB1_56
.LBB1_54:                               ;   in Loop: Header=BB1_34 Depth=1
	v_pk_mov_b32 v[14:15], 0, 0
.LBB1_55:                               ;   in Loop: Header=BB1_34 Depth=1
	s_mov_b32 s14, 0
	s_cbranch_execnz .LBB1_57
.LBB1_56:                               ;   in Loop: Header=BB1_34 Depth=1
	global_load_dwordx2 v[14:15], v33, s[0:1]
	s_add_i32 s14, s15, -8
	s_add_u32 s0, s0, 8
	s_addc_u32 s1, s1, 0
.LBB1_57:                               ;   in Loop: Header=BB1_34 Depth=1
	s_cmp_gt_u32 s14, 7
	s_cbranch_scc1 .LBB1_61
; %bb.58:                               ;   in Loop: Header=BB1_34 Depth=1
	s_cmp_eq_u32 s14, 0
	s_cbranch_scc1 .LBB1_62
; %bb.59:                               ;   in Loop: Header=BB1_34 Depth=1
	s_mov_b64 s[10:11], 0
	v_pk_mov_b32 v[16:17], 0, 0
	s_mov_b64 s[12:13], 0
.LBB1_60:                               ;   Parent Loop BB1_34 Depth=1
                                        ; =>  This Inner Loop Header: Depth=2
	s_add_u32 s16, s0, s12
	s_addc_u32 s17, s1, s13
	global_load_ubyte v4, v33, s[16:17]
	s_add_u32 s12, s12, 1
	s_addc_u32 s13, s13, 0
	s_waitcnt vmcnt(0)
	v_and_b32_e32 v32, 0xffff, v4
	v_lshlrev_b64 v[4:5], s10, v[32:33]
	s_add_u32 s10, s10, 8
	s_addc_u32 s11, s11, 0
	v_or_b32_e32 v16, v4, v16
	s_cmp_lg_u32 s14, s12
	v_or_b32_e32 v17, v5, v17
	s_cbranch_scc1 .LBB1_60
	s_branch .LBB1_63
.LBB1_61:                               ;   in Loop: Header=BB1_34 Depth=1
                                        ; implicit-def: $vgpr16_vgpr17
                                        ; implicit-def: $sgpr15
	s_branch .LBB1_64
.LBB1_62:                               ;   in Loop: Header=BB1_34 Depth=1
	v_pk_mov_b32 v[16:17], 0, 0
.LBB1_63:                               ;   in Loop: Header=BB1_34 Depth=1
	s_mov_b32 s15, 0
	s_cbranch_execnz .LBB1_65
.LBB1_64:                               ;   in Loop: Header=BB1_34 Depth=1
	global_load_dwordx2 v[16:17], v33, s[0:1]
	s_add_i32 s15, s14, -8
	s_add_u32 s0, s0, 8
	s_addc_u32 s1, s1, 0
.LBB1_65:                               ;   in Loop: Header=BB1_34 Depth=1
	s_cmp_gt_u32 s15, 7
	s_cbranch_scc1 .LBB1_69
; %bb.66:                               ;   in Loop: Header=BB1_34 Depth=1
	s_cmp_eq_u32 s15, 0
	s_cbranch_scc1 .LBB1_70
; %bb.67:                               ;   in Loop: Header=BB1_34 Depth=1
	s_mov_b64 s[10:11], 0
	v_pk_mov_b32 v[18:19], 0, 0
	s_mov_b64 s[12:13], 0
.LBB1_68:                               ;   Parent Loop BB1_34 Depth=1
                                        ; =>  This Inner Loop Header: Depth=2
	s_add_u32 s16, s0, s12
	s_addc_u32 s17, s1, s13
	global_load_ubyte v4, v33, s[16:17]
	s_add_u32 s12, s12, 1
	s_addc_u32 s13, s13, 0
	s_waitcnt vmcnt(0)
	v_and_b32_e32 v32, 0xffff, v4
	v_lshlrev_b64 v[4:5], s10, v[32:33]
	s_add_u32 s10, s10, 8
	s_addc_u32 s11, s11, 0
	v_or_b32_e32 v18, v4, v18
	s_cmp_lg_u32 s15, s12
	v_or_b32_e32 v19, v5, v19
	s_cbranch_scc1 .LBB1_68
	s_branch .LBB1_71
.LBB1_69:                               ;   in Loop: Header=BB1_34 Depth=1
                                        ; implicit-def: $sgpr14
	s_branch .LBB1_72
.LBB1_70:                               ;   in Loop: Header=BB1_34 Depth=1
	v_pk_mov_b32 v[18:19], 0, 0
.LBB1_71:                               ;   in Loop: Header=BB1_34 Depth=1
	s_mov_b32 s14, 0
	s_cbranch_execnz .LBB1_73
.LBB1_72:                               ;   in Loop: Header=BB1_34 Depth=1
	global_load_dwordx2 v[18:19], v33, s[0:1]
	s_add_i32 s14, s15, -8
	s_add_u32 s0, s0, 8
	s_addc_u32 s1, s1, 0
.LBB1_73:                               ;   in Loop: Header=BB1_34 Depth=1
	s_cmp_gt_u32 s14, 7
	s_cbranch_scc1 .LBB1_77
; %bb.74:                               ;   in Loop: Header=BB1_34 Depth=1
	s_cmp_eq_u32 s14, 0
	s_cbranch_scc1 .LBB1_78
; %bb.75:                               ;   in Loop: Header=BB1_34 Depth=1
	s_mov_b64 s[10:11], 0
	v_pk_mov_b32 v[20:21], 0, 0
	s_mov_b64 s[12:13], 0
.LBB1_76:                               ;   Parent Loop BB1_34 Depth=1
                                        ; =>  This Inner Loop Header: Depth=2
	s_add_u32 s16, s0, s12
	s_addc_u32 s17, s1, s13
	global_load_ubyte v4, v33, s[16:17]
	s_add_u32 s12, s12, 1
	s_addc_u32 s13, s13, 0
	s_waitcnt vmcnt(0)
	v_and_b32_e32 v32, 0xffff, v4
	v_lshlrev_b64 v[4:5], s10, v[32:33]
	s_add_u32 s10, s10, 8
	s_addc_u32 s11, s11, 0
	v_or_b32_e32 v20, v4, v20
	s_cmp_lg_u32 s14, s12
	v_or_b32_e32 v21, v5, v21
	s_cbranch_scc1 .LBB1_76
	s_branch .LBB1_79
.LBB1_77:                               ;   in Loop: Header=BB1_34 Depth=1
                                        ; implicit-def: $vgpr20_vgpr21
                                        ; implicit-def: $sgpr15
	s_branch .LBB1_80
.LBB1_78:                               ;   in Loop: Header=BB1_34 Depth=1
	v_pk_mov_b32 v[20:21], 0, 0
.LBB1_79:                               ;   in Loop: Header=BB1_34 Depth=1
	s_mov_b32 s15, 0
	s_cbranch_execnz .LBB1_81
.LBB1_80:                               ;   in Loop: Header=BB1_34 Depth=1
	global_load_dwordx2 v[20:21], v33, s[0:1]
	s_add_i32 s15, s14, -8
	s_add_u32 s0, s0, 8
	s_addc_u32 s1, s1, 0
.LBB1_81:                               ;   in Loop: Header=BB1_34 Depth=1
	s_cmp_gt_u32 s15, 7
	s_cbranch_scc1 .LBB1_85
; %bb.82:                               ;   in Loop: Header=BB1_34 Depth=1
	s_cmp_eq_u32 s15, 0
	s_cbranch_scc1 .LBB1_86
; %bb.83:                               ;   in Loop: Header=BB1_34 Depth=1
	s_mov_b64 s[10:11], 0
	v_pk_mov_b32 v[22:23], 0, 0
	s_mov_b64 s[12:13], s[0:1]
.LBB1_84:                               ;   Parent Loop BB1_34 Depth=1
                                        ; =>  This Inner Loop Header: Depth=2
	global_load_ubyte v4, v33, s[12:13]
	s_add_i32 s15, s15, -1
	s_waitcnt vmcnt(0)
	v_and_b32_e32 v32, 0xffff, v4
	v_lshlrev_b64 v[4:5], s10, v[32:33]
	s_add_u32 s10, s10, 8
	s_addc_u32 s11, s11, 0
	s_add_u32 s12, s12, 1
	s_addc_u32 s13, s13, 0
	v_or_b32_e32 v22, v4, v22
	s_cmp_lg_u32 s15, 0
	v_or_b32_e32 v23, v5, v23
	s_cbranch_scc1 .LBB1_84
	s_branch .LBB1_87
.LBB1_85:                               ;   in Loop: Header=BB1_34 Depth=1
	s_branch .LBB1_88
.LBB1_86:                               ;   in Loop: Header=BB1_34 Depth=1
	v_pk_mov_b32 v[22:23], 0, 0
.LBB1_87:                               ;   in Loop: Header=BB1_34 Depth=1
	s_cbranch_execnz .LBB1_89
.LBB1_88:                               ;   in Loop: Header=BB1_34 Depth=1
	global_load_dwordx2 v[22:23], v33, s[0:1]
.LBB1_89:                               ;   in Loop: Header=BB1_34 Depth=1
	v_readfirstlane_b32 s0, v36
	v_cmp_eq_u32_e64 s[0:1], s0, v36
	s_waitcnt vmcnt(0)
	v_pk_mov_b32 v[4:5], 0, 0
	s_and_saveexec_b64 s[10:11], s[0:1]
	s_cbranch_execz .LBB1_95
; %bb.90:                               ;   in Loop: Header=BB1_34 Depth=1
	global_load_dwordx2 v[26:27], v33, s[2:3] offset:24 glc
	s_waitcnt vmcnt(0)
	buffer_invl2
	buffer_wbinvl1_vol
	global_load_dwordx2 v[4:5], v33, s[2:3] offset:40
	global_load_dwordx2 v[8:9], v33, s[2:3]
	s_waitcnt vmcnt(1)
	v_and_b32_e32 v4, v4, v26
	v_and_b32_e32 v5, v5, v27
	v_mul_lo_u32 v5, v5, 24
	v_mul_hi_u32 v24, v4, 24
	v_mul_lo_u32 v4, v4, 24
	v_add_u32_e32 v5, v24, v5
	s_waitcnt vmcnt(0)
	v_add_co_u32_e32 v4, vcc, v8, v4
	v_addc_co_u32_e32 v5, vcc, v9, v5, vcc
	global_load_dwordx2 v[24:25], v[4:5], off glc
	s_waitcnt vmcnt(0)
	global_atomic_cmpswap_x2 v[4:5], v33, v[24:27], s[2:3] offset:24 glc
	s_waitcnt vmcnt(0)
	buffer_invl2
	buffer_wbinvl1_vol
	v_cmp_ne_u64_e32 vcc, v[4:5], v[26:27]
	s_and_saveexec_b64 s[12:13], vcc
	s_cbranch_execz .LBB1_94
; %bb.91:                               ;   in Loop: Header=BB1_34 Depth=1
	s_mov_b64 s[14:15], 0
.LBB1_92:                               ;   Parent Loop BB1_34 Depth=1
                                        ; =>  This Inner Loop Header: Depth=2
	s_sleep 1
	global_load_dwordx2 v[8:9], v33, s[2:3] offset:40
	global_load_dwordx2 v[24:25], v33, s[2:3]
	v_pk_mov_b32 v[26:27], v[4:5], v[4:5] op_sel:[0,1]
	s_waitcnt vmcnt(1)
	v_and_b32_e32 v4, v8, v26
	s_waitcnt vmcnt(0)
	v_mad_u64_u32 v[4:5], s[16:17], v4, 24, v[24:25]
	v_and_b32_e32 v9, v9, v27
	v_mov_b32_e32 v8, v5
	v_mad_u64_u32 v[8:9], s[16:17], v9, 24, v[8:9]
	v_mov_b32_e32 v5, v8
	global_load_dwordx2 v[24:25], v[4:5], off glc
	s_waitcnt vmcnt(0)
	global_atomic_cmpswap_x2 v[4:5], v33, v[24:27], s[2:3] offset:24 glc
	s_waitcnt vmcnt(0)
	buffer_invl2
	buffer_wbinvl1_vol
	v_cmp_eq_u64_e32 vcc, v[4:5], v[26:27]
	s_or_b64 s[14:15], vcc, s[14:15]
	s_andn2_b64 exec, exec, s[14:15]
	s_cbranch_execnz .LBB1_92
; %bb.93:                               ;   in Loop: Header=BB1_34 Depth=1
	s_or_b64 exec, exec, s[14:15]
.LBB1_94:                               ;   in Loop: Header=BB1_34 Depth=1
	s_or_b64 exec, exec, s[12:13]
.LBB1_95:                               ;   in Loop: Header=BB1_34 Depth=1
	s_or_b64 exec, exec, s[10:11]
	global_load_dwordx2 v[8:9], v33, s[2:3] offset:40
	global_load_dwordx4 v[24:27], v33, s[2:3]
	v_readfirstlane_b32 s10, v4
	v_readfirstlane_b32 s11, v5
	s_mov_b64 s[12:13], exec
	s_waitcnt vmcnt(1)
	v_readfirstlane_b32 s14, v8
	v_readfirstlane_b32 s15, v9
	s_and_b64 s[14:15], s[10:11], s[14:15]
	s_mul_i32 s16, s15, 24
	s_mul_hi_u32 s17, s14, 24
	s_mul_i32 s18, s14, 24
	s_add_i32 s16, s17, s16
	v_mov_b32_e32 v4, s16
	s_waitcnt vmcnt(0)
	v_add_co_u32_e32 v34, vcc, s18, v24
	v_addc_co_u32_e32 v35, vcc, v25, v4, vcc
	s_and_saveexec_b64 s[16:17], s[0:1]
	s_cbranch_execz .LBB1_97
; %bb.96:                               ;   in Loop: Header=BB1_34 Depth=1
	v_pk_mov_b32 v[4:5], s[12:13], s[12:13] op_sel:[0,1]
	global_store_dwordx4 v[34:35], v[4:7], off offset:8
.LBB1_97:                               ;   in Loop: Header=BB1_34 Depth=1
	s_or_b64 exec, exec, s[16:17]
	s_lshl_b64 s[12:13], s[14:15], 12
	v_mov_b32_e32 v4, s13
	v_add_co_u32_e32 v26, vcc, s12, v26
	v_addc_co_u32_e32 v27, vcc, v27, v4, vcc
	v_or_b32_e32 v5, v2, v30
	v_cmp_gt_u64_e64 vcc, s[6:7], 56
	s_lshl_b32 s12, s8, 2
	v_cndmask_b32_e32 v2, v5, v2, vcc
	s_add_i32 s12, s12, 28
	v_or_b32_e32 v4, 0, v3
	s_and_b32 s12, s12, 0x1e0
	v_and_b32_e32 v2, 0xffffff1f, v2
	v_cndmask_b32_e32 v9, v4, v3, vcc
	v_or_b32_e32 v8, s12, v2
	v_readfirstlane_b32 s12, v26
	v_readfirstlane_b32 s13, v27
	s_nop 4
	global_store_dwordx4 v31, v[8:11], s[12:13]
	global_store_dwordx4 v31, v[12:15], s[12:13] offset:16
	global_store_dwordx4 v31, v[16:19], s[12:13] offset:32
	;; [unrolled: 1-line block ×3, first 2 shown]
	s_and_saveexec_b64 s[12:13], s[0:1]
	s_cbranch_execz .LBB1_105
; %bb.98:                               ;   in Loop: Header=BB1_34 Depth=1
	global_load_dwordx2 v[12:13], v33, s[2:3] offset:32 glc
	global_load_dwordx2 v[2:3], v33, s[2:3] offset:40
	v_mov_b32_e32 v10, s10
	v_mov_b32_e32 v11, s11
	s_waitcnt vmcnt(0)
	v_readfirstlane_b32 s14, v2
	v_readfirstlane_b32 s15, v3
	s_and_b64 s[14:15], s[14:15], s[10:11]
	s_mul_i32 s15, s15, 24
	s_mul_hi_u32 s16, s14, 24
	s_mul_i32 s14, s14, 24
	s_add_i32 s15, s16, s15
	v_mov_b32_e32 v2, s15
	v_add_co_u32_e32 v8, vcc, s14, v24
	v_addc_co_u32_e32 v9, vcc, v25, v2, vcc
	global_store_dwordx2 v[8:9], v[12:13], off
	buffer_wbl2
	s_waitcnt vmcnt(0)
	global_atomic_cmpswap_x2 v[4:5], v33, v[10:13], s[2:3] offset:32 glc
	s_waitcnt vmcnt(0)
	v_cmp_ne_u64_e32 vcc, v[4:5], v[12:13]
	s_and_saveexec_b64 s[14:15], vcc
	s_cbranch_execz .LBB1_101
; %bb.99:                               ;   in Loop: Header=BB1_34 Depth=1
	s_mov_b64 s[16:17], 0
.LBB1_100:                              ;   Parent Loop BB1_34 Depth=1
                                        ; =>  This Inner Loop Header: Depth=2
	s_sleep 1
	global_store_dwordx2 v[8:9], v[4:5], off
	v_mov_b32_e32 v2, s10
	v_mov_b32_e32 v3, s11
	buffer_wbl2
	s_waitcnt vmcnt(0)
	global_atomic_cmpswap_x2 v[2:3], v33, v[2:5], s[2:3] offset:32 glc
	s_waitcnt vmcnt(0)
	v_cmp_eq_u64_e32 vcc, v[2:3], v[4:5]
	s_or_b64 s[16:17], vcc, s[16:17]
	v_pk_mov_b32 v[4:5], v[2:3], v[2:3] op_sel:[0,1]
	s_andn2_b64 exec, exec, s[16:17]
	s_cbranch_execnz .LBB1_100
.LBB1_101:                              ;   in Loop: Header=BB1_34 Depth=1
	s_or_b64 exec, exec, s[14:15]
	global_load_dwordx2 v[2:3], v33, s[2:3] offset:16
	s_mov_b64 s[16:17], exec
	v_mbcnt_lo_u32_b32 v4, s16, 0
	v_mbcnt_hi_u32_b32 v4, s17, v4
	v_cmp_eq_u32_e32 vcc, 0, v4
	s_and_saveexec_b64 s[14:15], vcc
	s_cbranch_execz .LBB1_103
; %bb.102:                              ;   in Loop: Header=BB1_34 Depth=1
	s_bcnt1_i32_b64 s16, s[16:17]
	v_mov_b32_e32 v32, s16
	buffer_wbl2
	s_waitcnt vmcnt(0)
	global_atomic_add_x2 v[2:3], v[32:33], off offset:8
.LBB1_103:                              ;   in Loop: Header=BB1_34 Depth=1
	s_or_b64 exec, exec, s[14:15]
	s_waitcnt vmcnt(0)
	global_load_dwordx2 v[4:5], v[2:3], off offset:16
	s_waitcnt vmcnt(0)
	v_cmp_eq_u64_e32 vcc, 0, v[4:5]
	s_cbranch_vccnz .LBB1_105
; %bb.104:                              ;   in Loop: Header=BB1_34 Depth=1
	global_load_dword v32, v[2:3], off offset:24
	s_waitcnt vmcnt(0)
	v_and_b32_e32 v2, 0xffffff, v32
	v_readfirstlane_b32 m0, v2
	buffer_wbl2
	global_store_dwordx2 v[4:5], v[32:33], off
	s_sendmsg sendmsg(MSG_INTERRUPT)
.LBB1_105:                              ;   in Loop: Header=BB1_34 Depth=1
	s_or_b64 exec, exec, s[12:13]
	v_add_co_u32_e32 v2, vcc, v26, v31
	v_addc_co_u32_e32 v3, vcc, 0, v27, vcc
	s_branch .LBB1_109
.LBB1_106:                              ;   in Loop: Header=BB1_109 Depth=2
	s_or_b64 exec, exec, s[12:13]
	v_readfirstlane_b32 s12, v4
	s_cmp_eq_u32 s12, 0
	s_cbranch_scc1 .LBB1_108
; %bb.107:                              ;   in Loop: Header=BB1_109 Depth=2
	s_sleep 1
	s_cbranch_execnz .LBB1_109
	s_branch .LBB1_111
.LBB1_108:                              ;   in Loop: Header=BB1_34 Depth=1
	s_branch .LBB1_111
.LBB1_109:                              ;   Parent Loop BB1_34 Depth=1
                                        ; =>  This Inner Loop Header: Depth=2
	v_mov_b32_e32 v4, 1
	s_and_saveexec_b64 s[12:13], s[0:1]
	s_cbranch_execz .LBB1_106
; %bb.110:                              ;   in Loop: Header=BB1_109 Depth=2
	global_load_dword v4, v[34:35], off offset:20 glc
	s_waitcnt vmcnt(0)
	buffer_invl2
	buffer_wbinvl1_vol
	v_and_b32_e32 v4, 1, v4
	s_branch .LBB1_106
.LBB1_111:                              ;   in Loop: Header=BB1_34 Depth=1
	global_load_dwordx4 v[2:5], v[2:3], off
	s_and_saveexec_b64 s[12:13], s[0:1]
	s_cbranch_execz .LBB1_33
; %bb.112:                              ;   in Loop: Header=BB1_34 Depth=1
	global_load_dwordx2 v[4:5], v33, s[2:3] offset:40
	global_load_dwordx2 v[12:13], v33, s[2:3] offset:24 glc
	global_load_dwordx2 v[14:15], v33, s[2:3]
	v_mov_b32_e32 v9, s11
	s_waitcnt vmcnt(2)
	v_add_co_u32_e32 v11, vcc, 1, v4
	v_addc_co_u32_e32 v16, vcc, 0, v5, vcc
	v_add_co_u32_e32 v8, vcc, s10, v11
	v_addc_co_u32_e32 v9, vcc, v16, v9, vcc
	v_cmp_eq_u64_e32 vcc, 0, v[8:9]
	v_cndmask_b32_e32 v9, v9, v16, vcc
	v_cndmask_b32_e32 v8, v8, v11, vcc
	v_and_b32_e32 v5, v9, v5
	v_and_b32_e32 v4, v8, v4
	v_mul_lo_u32 v5, v5, 24
	v_mul_hi_u32 v11, v4, 24
	v_mul_lo_u32 v4, v4, 24
	v_add_u32_e32 v5, v11, v5
	s_waitcnt vmcnt(0)
	v_add_co_u32_e32 v4, vcc, v14, v4
	v_addc_co_u32_e32 v5, vcc, v15, v5, vcc
	v_mov_b32_e32 v10, v12
	global_store_dwordx2 v[4:5], v[12:13], off
	v_mov_b32_e32 v11, v13
	buffer_wbl2
	s_waitcnt vmcnt(0)
	global_atomic_cmpswap_x2 v[10:11], v33, v[8:11], s[2:3] offset:24 glc
	s_waitcnt vmcnt(0)
	v_cmp_ne_u64_e32 vcc, v[10:11], v[12:13]
	s_and_b64 exec, exec, vcc
	s_cbranch_execz .LBB1_33
; %bb.113:                              ;   in Loop: Header=BB1_34 Depth=1
	s_mov_b64 s[0:1], 0
.LBB1_114:                              ;   Parent Loop BB1_34 Depth=1
                                        ; =>  This Inner Loop Header: Depth=2
	s_sleep 1
	global_store_dwordx2 v[4:5], v[10:11], off
	buffer_wbl2
	s_waitcnt vmcnt(0)
	global_atomic_cmpswap_x2 v[12:13], v33, v[8:11], s[2:3] offset:24 glc
	s_waitcnt vmcnt(0)
	v_cmp_eq_u64_e32 vcc, v[12:13], v[10:11]
	s_or_b64 s[0:1], vcc, s[0:1]
	v_pk_mov_b32 v[10:11], v[12:13], v[12:13] op_sel:[0,1]
	s_andn2_b64 exec, exec, s[0:1]
	s_cbranch_execnz .LBB1_114
	s_branch .LBB1_33
.LBB1_115:
	s_branch .LBB1_143
.LBB1_116:
                                        ; implicit-def: $vgpr2_vgpr3
	s_cbranch_execz .LBB1_143
; %bb.117:
	v_readfirstlane_b32 s0, v36
	v_cmp_eq_u32_e64 s[0:1], s0, v36
	v_pk_mov_b32 v[8:9], 0, 0
	s_and_saveexec_b64 s[4:5], s[0:1]
	s_cbranch_execz .LBB1_123
; %bb.118:
	s_waitcnt vmcnt(0)
	v_mov_b32_e32 v2, 0
	global_load_dwordx2 v[6:7], v2, s[2:3] offset:24 glc
	s_waitcnt vmcnt(0)
	buffer_invl2
	buffer_wbinvl1_vol
	global_load_dwordx2 v[4:5], v2, s[2:3] offset:40
	global_load_dwordx2 v[8:9], v2, s[2:3]
	s_waitcnt vmcnt(1)
	v_and_b32_e32 v3, v4, v6
	v_and_b32_e32 v4, v5, v7
	v_mul_lo_u32 v4, v4, 24
	v_mul_hi_u32 v5, v3, 24
	v_mul_lo_u32 v3, v3, 24
	v_add_u32_e32 v5, v5, v4
	s_waitcnt vmcnt(0)
	v_add_co_u32_e32 v4, vcc, v8, v3
	v_addc_co_u32_e32 v5, vcc, v9, v5, vcc
	global_load_dwordx2 v[4:5], v[4:5], off glc
	s_waitcnt vmcnt(0)
	global_atomic_cmpswap_x2 v[8:9], v2, v[4:7], s[2:3] offset:24 glc
	s_waitcnt vmcnt(0)
	buffer_invl2
	buffer_wbinvl1_vol
	v_cmp_ne_u64_e32 vcc, v[8:9], v[6:7]
	s_and_saveexec_b64 s[6:7], vcc
	s_cbranch_execz .LBB1_122
; %bb.119:
	s_mov_b64 s[8:9], 0
.LBB1_120:                              ; =>This Inner Loop Header: Depth=1
	s_sleep 1
	global_load_dwordx2 v[4:5], v2, s[2:3] offset:40
	global_load_dwordx2 v[10:11], v2, s[2:3]
	v_pk_mov_b32 v[6:7], v[8:9], v[8:9] op_sel:[0,1]
	s_waitcnt vmcnt(1)
	v_and_b32_e32 v4, v4, v6
	v_and_b32_e32 v3, v5, v7
	s_waitcnt vmcnt(0)
	v_mad_u64_u32 v[4:5], s[10:11], v4, 24, v[10:11]
	v_mov_b32_e32 v8, v5
	v_mad_u64_u32 v[8:9], s[10:11], v3, 24, v[8:9]
	v_mov_b32_e32 v5, v8
	global_load_dwordx2 v[4:5], v[4:5], off glc
	s_waitcnt vmcnt(0)
	global_atomic_cmpswap_x2 v[8:9], v2, v[4:7], s[2:3] offset:24 glc
	s_waitcnt vmcnt(0)
	buffer_invl2
	buffer_wbinvl1_vol
	v_cmp_eq_u64_e32 vcc, v[8:9], v[6:7]
	s_or_b64 s[8:9], vcc, s[8:9]
	s_andn2_b64 exec, exec, s[8:9]
	s_cbranch_execnz .LBB1_120
; %bb.121:
	s_or_b64 exec, exec, s[8:9]
.LBB1_122:
	s_or_b64 exec, exec, s[6:7]
.LBB1_123:
	s_or_b64 exec, exec, s[4:5]
	s_waitcnt vmcnt(0)
	v_mov_b32_e32 v2, 0
	global_load_dwordx2 v[10:11], v2, s[2:3] offset:40
	global_load_dwordx4 v[4:7], v2, s[2:3]
	v_readfirstlane_b32 s4, v8
	v_readfirstlane_b32 s5, v9
	s_mov_b64 s[6:7], exec
	s_waitcnt vmcnt(1)
	v_readfirstlane_b32 s8, v10
	v_readfirstlane_b32 s9, v11
	s_and_b64 s[8:9], s[4:5], s[8:9]
	s_mul_i32 s10, s9, 24
	s_mul_hi_u32 s11, s8, 24
	s_mul_i32 s12, s8, 24
	s_add_i32 s10, s11, s10
	v_mov_b32_e32 v3, s10
	s_waitcnt vmcnt(0)
	v_add_co_u32_e32 v8, vcc, s12, v4
	v_addc_co_u32_e32 v9, vcc, v5, v3, vcc
	s_and_saveexec_b64 s[10:11], s[0:1]
	s_cbranch_execz .LBB1_125
; %bb.124:
	v_pk_mov_b32 v[10:11], s[6:7], s[6:7] op_sel:[0,1]
	v_mov_b32_e32 v12, 2
	v_mov_b32_e32 v13, 1
	global_store_dwordx4 v[8:9], v[10:13], off offset:8
.LBB1_125:
	s_or_b64 exec, exec, s[10:11]
	s_lshl_b64 s[6:7], s[8:9], 12
	v_mov_b32_e32 v3, s7
	v_add_co_u32_e32 v10, vcc, s6, v6
	v_addc_co_u32_e32 v11, vcc, v7, v3, vcc
	s_movk_i32 s6, 0xff1f
	s_mov_b32 s8, 0
	v_and_or_b32 v0, v0, s6, 32
	v_mov_b32_e32 v3, v2
	v_readfirstlane_b32 s6, v10
	v_readfirstlane_b32 s7, v11
	s_mov_b32 s9, s8
	v_add_co_u32_e32 v6, vcc, v10, v31
	s_mov_b32 s10, s8
	s_mov_b32 s11, s8
	s_nop 0
	global_store_dwordx4 v31, v[0:3], s[6:7]
	v_addc_co_u32_e32 v7, vcc, 0, v11, vcc
	v_pk_mov_b32 v[0:1], s[8:9], s[8:9] op_sel:[0,1]
	v_pk_mov_b32 v[2:3], s[10:11], s[10:11] op_sel:[0,1]
	global_store_dwordx4 v31, v[0:3], s[6:7] offset:16
	global_store_dwordx4 v31, v[0:3], s[6:7] offset:32
	global_store_dwordx4 v31, v[0:3], s[6:7] offset:48
	s_and_saveexec_b64 s[6:7], s[0:1]
	s_cbranch_execz .LBB1_133
; %bb.126:
	v_mov_b32_e32 v10, 0
	global_load_dwordx2 v[14:15], v10, s[2:3] offset:32 glc
	global_load_dwordx2 v[0:1], v10, s[2:3] offset:40
	v_mov_b32_e32 v12, s4
	v_mov_b32_e32 v13, s5
	s_waitcnt vmcnt(0)
	v_readfirstlane_b32 s8, v0
	v_readfirstlane_b32 s9, v1
	s_and_b64 s[8:9], s[8:9], s[4:5]
	s_mul_i32 s9, s9, 24
	s_mul_hi_u32 s10, s8, 24
	s_mul_i32 s8, s8, 24
	s_add_i32 s9, s10, s9
	v_mov_b32_e32 v0, s9
	v_add_co_u32_e32 v4, vcc, s8, v4
	v_addc_co_u32_e32 v5, vcc, v5, v0, vcc
	global_store_dwordx2 v[4:5], v[14:15], off
	buffer_wbl2
	s_waitcnt vmcnt(0)
	global_atomic_cmpswap_x2 v[2:3], v10, v[12:15], s[2:3] offset:32 glc
	s_waitcnt vmcnt(0)
	v_cmp_ne_u64_e32 vcc, v[2:3], v[14:15]
	s_and_saveexec_b64 s[8:9], vcc
	s_cbranch_execz .LBB1_129
; %bb.127:
	s_mov_b64 s[10:11], 0
.LBB1_128:                              ; =>This Inner Loop Header: Depth=1
	s_sleep 1
	global_store_dwordx2 v[4:5], v[2:3], off
	v_mov_b32_e32 v0, s4
	v_mov_b32_e32 v1, s5
	buffer_wbl2
	s_waitcnt vmcnt(0)
	global_atomic_cmpswap_x2 v[0:1], v10, v[0:3], s[2:3] offset:32 glc
	s_waitcnt vmcnt(0)
	v_cmp_eq_u64_e32 vcc, v[0:1], v[2:3]
	s_or_b64 s[10:11], vcc, s[10:11]
	v_pk_mov_b32 v[2:3], v[0:1], v[0:1] op_sel:[0,1]
	s_andn2_b64 exec, exec, s[10:11]
	s_cbranch_execnz .LBB1_128
.LBB1_129:
	s_or_b64 exec, exec, s[8:9]
	v_mov_b32_e32 v3, 0
	global_load_dwordx2 v[0:1], v3, s[2:3] offset:16
	s_mov_b64 s[8:9], exec
	v_mbcnt_lo_u32_b32 v2, s8, 0
	v_mbcnt_hi_u32_b32 v2, s9, v2
	v_cmp_eq_u32_e32 vcc, 0, v2
	s_and_saveexec_b64 s[10:11], vcc
	s_cbranch_execz .LBB1_131
; %bb.130:
	s_bcnt1_i32_b64 s8, s[8:9]
	v_mov_b32_e32 v2, s8
	buffer_wbl2
	s_waitcnt vmcnt(0)
	global_atomic_add_x2 v[0:1], v[2:3], off offset:8
.LBB1_131:
	s_or_b64 exec, exec, s[10:11]
	s_waitcnt vmcnt(0)
	global_load_dwordx2 v[2:3], v[0:1], off offset:16
	s_waitcnt vmcnt(0)
	v_cmp_eq_u64_e32 vcc, 0, v[2:3]
	s_cbranch_vccnz .LBB1_133
; %bb.132:
	global_load_dword v0, v[0:1], off offset:24
	v_mov_b32_e32 v1, 0
	buffer_wbl2
	s_waitcnt vmcnt(0)
	global_store_dwordx2 v[2:3], v[0:1], off
	v_and_b32_e32 v0, 0xffffff, v0
	v_readfirstlane_b32 m0, v0
	s_sendmsg sendmsg(MSG_INTERRUPT)
.LBB1_133:
	s_or_b64 exec, exec, s[6:7]
	s_branch .LBB1_137
.LBB1_134:                              ;   in Loop: Header=BB1_137 Depth=1
	s_or_b64 exec, exec, s[6:7]
	v_readfirstlane_b32 s6, v0
	s_cmp_eq_u32 s6, 0
	s_cbranch_scc1 .LBB1_136
; %bb.135:                              ;   in Loop: Header=BB1_137 Depth=1
	s_sleep 1
	s_cbranch_execnz .LBB1_137
	s_branch .LBB1_139
.LBB1_136:
	s_branch .LBB1_139
.LBB1_137:                              ; =>This Inner Loop Header: Depth=1
	v_mov_b32_e32 v0, 1
	s_and_saveexec_b64 s[6:7], s[0:1]
	s_cbranch_execz .LBB1_134
; %bb.138:                              ;   in Loop: Header=BB1_137 Depth=1
	global_load_dword v0, v[8:9], off offset:20 glc
	s_waitcnt vmcnt(0)
	buffer_invl2
	buffer_wbinvl1_vol
	v_and_b32_e32 v0, 1, v0
	s_branch .LBB1_134
.LBB1_139:
	global_load_dwordx2 v[2:3], v[6:7], off
	s_and_saveexec_b64 s[6:7], s[0:1]
	s_cbranch_execz .LBB1_142
; %bb.140:
	v_mov_b32_e32 v8, 0
	global_load_dwordx2 v[0:1], v8, s[2:3] offset:40
	global_load_dwordx2 v[10:11], v8, s[2:3] offset:24 glc
	global_load_dwordx2 v[12:13], v8, s[2:3]
	v_mov_b32_e32 v5, s5
	s_mov_b64 s[0:1], 0
	s_waitcnt vmcnt(2)
	v_add_co_u32_e32 v7, vcc, 1, v0
	v_addc_co_u32_e32 v9, vcc, 0, v1, vcc
	v_add_co_u32_e32 v4, vcc, s4, v7
	v_addc_co_u32_e32 v5, vcc, v9, v5, vcc
	v_cmp_eq_u64_e32 vcc, 0, v[4:5]
	v_cndmask_b32_e32 v5, v5, v9, vcc
	v_cndmask_b32_e32 v4, v4, v7, vcc
	v_and_b32_e32 v1, v5, v1
	v_and_b32_e32 v0, v4, v0
	v_mul_lo_u32 v1, v1, 24
	v_mul_hi_u32 v7, v0, 24
	v_mul_lo_u32 v0, v0, 24
	v_add_u32_e32 v1, v7, v1
	s_waitcnt vmcnt(0)
	v_add_co_u32_e32 v0, vcc, v12, v0
	v_addc_co_u32_e32 v1, vcc, v13, v1, vcc
	v_mov_b32_e32 v6, v10
	global_store_dwordx2 v[0:1], v[10:11], off
	v_mov_b32_e32 v7, v11
	buffer_wbl2
	s_waitcnt vmcnt(0)
	global_atomic_cmpswap_x2 v[6:7], v8, v[4:7], s[2:3] offset:24 glc
	s_waitcnt vmcnt(0)
	v_cmp_ne_u64_e32 vcc, v[6:7], v[10:11]
	s_and_b64 exec, exec, vcc
	s_cbranch_execz .LBB1_142
.LBB1_141:                              ; =>This Inner Loop Header: Depth=1
	s_sleep 1
	global_store_dwordx2 v[0:1], v[6:7], off
	buffer_wbl2
	s_waitcnt vmcnt(0)
	global_atomic_cmpswap_x2 v[10:11], v8, v[4:7], s[2:3] offset:24 glc
	s_waitcnt vmcnt(0)
	v_cmp_eq_u64_e32 vcc, v[10:11], v[6:7]
	s_or_b64 s[0:1], vcc, s[0:1]
	v_pk_mov_b32 v[6:7], v[10:11], v[10:11] op_sel:[0,1]
	s_andn2_b64 exec, exec, s[0:1]
	s_cbranch_execnz .LBB1_141
.LBB1_142:
	s_or_b64 exec, exec, s[6:7]
.LBB1_143:
	v_readfirstlane_b32 s0, v36
	v_cmp_eq_u32_e64 s[0:1], s0, v36
	s_waitcnt vmcnt(0)
	v_pk_mov_b32 v[0:1], 0, 0
	s_and_saveexec_b64 s[4:5], s[0:1]
	s_cbranch_execz .LBB1_149
; %bb.144:
	v_mov_b32_e32 v4, 0
	global_load_dwordx2 v[8:9], v4, s[2:3] offset:24 glc
	s_waitcnt vmcnt(0)
	buffer_invl2
	buffer_wbinvl1_vol
	global_load_dwordx2 v[0:1], v4, s[2:3] offset:40
	global_load_dwordx2 v[6:7], v4, s[2:3]
	s_waitcnt vmcnt(1)
	v_and_b32_e32 v0, v0, v8
	v_and_b32_e32 v1, v1, v9
	v_mul_lo_u32 v1, v1, 24
	v_mul_hi_u32 v5, v0, 24
	v_mul_lo_u32 v0, v0, 24
	v_add_u32_e32 v1, v5, v1
	s_waitcnt vmcnt(0)
	v_add_co_u32_e32 v0, vcc, v6, v0
	v_addc_co_u32_e32 v1, vcc, v7, v1, vcc
	global_load_dwordx2 v[6:7], v[0:1], off glc
	s_waitcnt vmcnt(0)
	global_atomic_cmpswap_x2 v[0:1], v4, v[6:9], s[2:3] offset:24 glc
	s_waitcnt vmcnt(0)
	buffer_invl2
	buffer_wbinvl1_vol
	v_cmp_ne_u64_e32 vcc, v[0:1], v[8:9]
	s_and_saveexec_b64 s[6:7], vcc
	s_cbranch_execz .LBB1_148
; %bb.145:
	s_mov_b64 s[8:9], 0
.LBB1_146:                              ; =>This Inner Loop Header: Depth=1
	s_sleep 1
	global_load_dwordx2 v[6:7], v4, s[2:3] offset:40
	global_load_dwordx2 v[10:11], v4, s[2:3]
	v_pk_mov_b32 v[8:9], v[0:1], v[0:1] op_sel:[0,1]
	s_waitcnt vmcnt(1)
	v_and_b32_e32 v0, v6, v8
	s_waitcnt vmcnt(0)
	v_mad_u64_u32 v[0:1], s[10:11], v0, 24, v[10:11]
	v_and_b32_e32 v5, v7, v9
	v_mov_b32_e32 v6, v1
	v_mad_u64_u32 v[6:7], s[10:11], v5, 24, v[6:7]
	v_mov_b32_e32 v1, v6
	global_load_dwordx2 v[6:7], v[0:1], off glc
	s_waitcnt vmcnt(0)
	global_atomic_cmpswap_x2 v[0:1], v4, v[6:9], s[2:3] offset:24 glc
	s_waitcnt vmcnt(0)
	buffer_invl2
	buffer_wbinvl1_vol
	v_cmp_eq_u64_e32 vcc, v[0:1], v[8:9]
	s_or_b64 s[8:9], vcc, s[8:9]
	s_andn2_b64 exec, exec, s[8:9]
	s_cbranch_execnz .LBB1_146
; %bb.147:
	s_or_b64 exec, exec, s[8:9]
.LBB1_148:
	s_or_b64 exec, exec, s[6:7]
.LBB1_149:
	s_or_b64 exec, exec, s[4:5]
	v_mov_b32_e32 v5, 0
	global_load_dwordx2 v[10:11], v5, s[2:3] offset:40
	global_load_dwordx4 v[6:9], v5, s[2:3]
	v_readfirstlane_b32 s4, v0
	v_readfirstlane_b32 s5, v1
	s_mov_b64 s[6:7], exec
	s_waitcnt vmcnt(1)
	v_readfirstlane_b32 s8, v10
	v_readfirstlane_b32 s9, v11
	s_and_b64 s[8:9], s[4:5], s[8:9]
	s_mul_i32 s10, s9, 24
	s_mul_hi_u32 s11, s8, 24
	s_mul_i32 s12, s8, 24
	s_add_i32 s10, s11, s10
	v_mov_b32_e32 v0, s10
	s_waitcnt vmcnt(0)
	v_add_co_u32_e32 v10, vcc, s12, v6
	v_addc_co_u32_e32 v11, vcc, v7, v0, vcc
	s_and_saveexec_b64 s[10:11], s[0:1]
	s_cbranch_execz .LBB1_151
; %bb.150:
	v_pk_mov_b32 v[12:13], s[6:7], s[6:7] op_sel:[0,1]
	v_mov_b32_e32 v14, 2
	v_mov_b32_e32 v15, 1
	global_store_dwordx4 v[10:11], v[12:15], off offset:8
.LBB1_151:
	s_or_b64 exec, exec, s[10:11]
	s_lshl_b64 s[6:7], s[8:9], 12
	v_mov_b32_e32 v1, s7
	v_add_co_u32_e32 v0, vcc, s6, v8
	v_addc_co_u32_e32 v1, vcc, v9, v1, vcc
	s_mov_b32 s8, 0
	s_movk_i32 s6, 0xff1f
	v_and_or_b32 v2, v2, s6, 32
	v_add_co_u32_e32 v8, vcc, v0, v31
	v_mov_b32_e32 v4, v28
	v_readfirstlane_b32 s6, v0
	v_readfirstlane_b32 s7, v1
	s_mov_b32 s9, s8
	v_addc_co_u32_e32 v9, vcc, 0, v1, vcc
	s_mov_b32 s10, s8
	s_mov_b32 s11, s8
	s_nop 0
	global_store_dwordx4 v31, v[2:5], s[6:7]
	v_pk_mov_b32 v[0:1], s[8:9], s[8:9] op_sel:[0,1]
	v_pk_mov_b32 v[2:3], s[10:11], s[10:11] op_sel:[0,1]
	global_store_dwordx4 v31, v[0:3], s[6:7] offset:16
	global_store_dwordx4 v31, v[0:3], s[6:7] offset:32
	;; [unrolled: 1-line block ×3, first 2 shown]
	s_and_saveexec_b64 s[6:7], s[0:1]
	s_cbranch_execz .LBB1_159
; %bb.152:
	v_mov_b32_e32 v12, 0
	global_load_dwordx2 v[16:17], v12, s[2:3] offset:32 glc
	global_load_dwordx2 v[0:1], v12, s[2:3] offset:40
	v_mov_b32_e32 v14, s4
	v_mov_b32_e32 v15, s5
	s_waitcnt vmcnt(0)
	v_readfirstlane_b32 s8, v0
	v_readfirstlane_b32 s9, v1
	s_and_b64 s[8:9], s[8:9], s[4:5]
	s_mul_i32 s9, s9, 24
	s_mul_hi_u32 s10, s8, 24
	s_mul_i32 s8, s8, 24
	s_add_i32 s9, s10, s9
	v_mov_b32_e32 v0, s9
	v_add_co_u32_e32 v4, vcc, s8, v6
	v_addc_co_u32_e32 v5, vcc, v7, v0, vcc
	global_store_dwordx2 v[4:5], v[16:17], off
	buffer_wbl2
	s_waitcnt vmcnt(0)
	global_atomic_cmpswap_x2 v[2:3], v12, v[14:17], s[2:3] offset:32 glc
	s_waitcnt vmcnt(0)
	v_cmp_ne_u64_e32 vcc, v[2:3], v[16:17]
	s_and_saveexec_b64 s[8:9], vcc
	s_cbranch_execz .LBB1_155
; %bb.153:
	s_mov_b64 s[10:11], 0
.LBB1_154:                              ; =>This Inner Loop Header: Depth=1
	s_sleep 1
	global_store_dwordx2 v[4:5], v[2:3], off
	v_mov_b32_e32 v0, s4
	v_mov_b32_e32 v1, s5
	buffer_wbl2
	s_waitcnt vmcnt(0)
	global_atomic_cmpswap_x2 v[0:1], v12, v[0:3], s[2:3] offset:32 glc
	s_waitcnt vmcnt(0)
	v_cmp_eq_u64_e32 vcc, v[0:1], v[2:3]
	s_or_b64 s[10:11], vcc, s[10:11]
	v_pk_mov_b32 v[2:3], v[0:1], v[0:1] op_sel:[0,1]
	s_andn2_b64 exec, exec, s[10:11]
	s_cbranch_execnz .LBB1_154
.LBB1_155:
	s_or_b64 exec, exec, s[8:9]
	v_mov_b32_e32 v3, 0
	global_load_dwordx2 v[0:1], v3, s[2:3] offset:16
	s_mov_b64 s[8:9], exec
	v_mbcnt_lo_u32_b32 v2, s8, 0
	v_mbcnt_hi_u32_b32 v2, s9, v2
	v_cmp_eq_u32_e32 vcc, 0, v2
	s_and_saveexec_b64 s[10:11], vcc
	s_cbranch_execz .LBB1_157
; %bb.156:
	s_bcnt1_i32_b64 s8, s[8:9]
	v_mov_b32_e32 v2, s8
	buffer_wbl2
	s_waitcnt vmcnt(0)
	global_atomic_add_x2 v[0:1], v[2:3], off offset:8
.LBB1_157:
	s_or_b64 exec, exec, s[10:11]
	s_waitcnt vmcnt(0)
	global_load_dwordx2 v[2:3], v[0:1], off offset:16
	s_waitcnt vmcnt(0)
	v_cmp_eq_u64_e32 vcc, 0, v[2:3]
	s_cbranch_vccnz .LBB1_159
; %bb.158:
	global_load_dword v0, v[0:1], off offset:24
	v_mov_b32_e32 v1, 0
	buffer_wbl2
	s_waitcnt vmcnt(0)
	global_store_dwordx2 v[2:3], v[0:1], off
	v_and_b32_e32 v0, 0xffffff, v0
	v_readfirstlane_b32 m0, v0
	s_sendmsg sendmsg(MSG_INTERRUPT)
.LBB1_159:
	s_or_b64 exec, exec, s[6:7]
	s_branch .LBB1_163
.LBB1_160:                              ;   in Loop: Header=BB1_163 Depth=1
	s_or_b64 exec, exec, s[6:7]
	v_readfirstlane_b32 s6, v0
	s_cmp_eq_u32 s6, 0
	s_cbranch_scc1 .LBB1_162
; %bb.161:                              ;   in Loop: Header=BB1_163 Depth=1
	s_sleep 1
	s_cbranch_execnz .LBB1_163
	s_branch .LBB1_165
.LBB1_162:
	s_branch .LBB1_165
.LBB1_163:                              ; =>This Inner Loop Header: Depth=1
	v_mov_b32_e32 v0, 1
	s_and_saveexec_b64 s[6:7], s[0:1]
	s_cbranch_execz .LBB1_160
; %bb.164:                              ;   in Loop: Header=BB1_163 Depth=1
	global_load_dword v0, v[10:11], off offset:20 glc
	s_waitcnt vmcnt(0)
	buffer_invl2
	buffer_wbinvl1_vol
	v_and_b32_e32 v0, 1, v0
	s_branch .LBB1_160
.LBB1_165:
	global_load_dwordx2 v[0:1], v[8:9], off
	s_and_saveexec_b64 s[6:7], s[0:1]
	s_cbranch_execz .LBB1_168
; %bb.166:
	v_mov_b32_e32 v8, 0
	global_load_dwordx2 v[6:7], v8, s[2:3] offset:40
	global_load_dwordx2 v[10:11], v8, s[2:3] offset:24 glc
	global_load_dwordx2 v[12:13], v8, s[2:3]
	v_mov_b32_e32 v3, s5
	s_mov_b64 s[0:1], 0
	s_waitcnt vmcnt(2)
	v_add_co_u32_e32 v5, vcc, 1, v6
	v_addc_co_u32_e32 v9, vcc, 0, v7, vcc
	v_add_co_u32_e32 v2, vcc, s4, v5
	v_addc_co_u32_e32 v3, vcc, v9, v3, vcc
	v_cmp_eq_u64_e32 vcc, 0, v[2:3]
	v_cndmask_b32_e32 v3, v3, v9, vcc
	v_cndmask_b32_e32 v2, v2, v5, vcc
	v_and_b32_e32 v5, v3, v7
	v_and_b32_e32 v6, v2, v6
	v_mul_lo_u32 v5, v5, 24
	v_mul_hi_u32 v7, v6, 24
	v_mul_lo_u32 v6, v6, 24
	v_add_u32_e32 v5, v7, v5
	s_waitcnt vmcnt(0)
	v_add_co_u32_e32 v6, vcc, v12, v6
	v_addc_co_u32_e32 v7, vcc, v13, v5, vcc
	v_mov_b32_e32 v4, v10
	global_store_dwordx2 v[6:7], v[10:11], off
	v_mov_b32_e32 v5, v11
	buffer_wbl2
	s_waitcnt vmcnt(0)
	global_atomic_cmpswap_x2 v[4:5], v8, v[2:5], s[2:3] offset:24 glc
	s_waitcnt vmcnt(0)
	v_cmp_ne_u64_e32 vcc, v[4:5], v[10:11]
	s_and_b64 exec, exec, vcc
	s_cbranch_execz .LBB1_168
.LBB1_167:                              ; =>This Inner Loop Header: Depth=1
	s_sleep 1
	global_store_dwordx2 v[6:7], v[4:5], off
	buffer_wbl2
	s_waitcnt vmcnt(0)
	global_atomic_cmpswap_x2 v[10:11], v8, v[2:5], s[2:3] offset:24 glc
	s_waitcnt vmcnt(0)
	v_cmp_eq_u64_e32 vcc, v[10:11], v[4:5]
	s_or_b64 s[0:1], vcc, s[0:1]
	v_pk_mov_b32 v[4:5], v[10:11], v[10:11] op_sel:[0,1]
	s_andn2_b64 exec, exec, s[0:1]
	s_cbranch_execnz .LBB1_167
.LBB1_168:
	s_or_b64 exec, exec, s[6:7]
	v_readfirstlane_b32 s0, v36
	v_cmp_eq_u32_e64 s[0:1], s0, v36
	v_pk_mov_b32 v[2:3], 0, 0
	s_and_saveexec_b64 s[4:5], s[0:1]
	s_cbranch_execz .LBB1_174
; %bb.169:
	v_mov_b32_e32 v4, 0
	global_load_dwordx2 v[8:9], v4, s[2:3] offset:24 glc
	s_waitcnt vmcnt(0)
	buffer_invl2
	buffer_wbinvl1_vol
	global_load_dwordx2 v[2:3], v4, s[2:3] offset:40
	global_load_dwordx2 v[6:7], v4, s[2:3]
	s_waitcnt vmcnt(1)
	v_and_b32_e32 v2, v2, v8
	v_and_b32_e32 v3, v3, v9
	v_mul_lo_u32 v3, v3, 24
	v_mul_hi_u32 v5, v2, 24
	v_mul_lo_u32 v2, v2, 24
	v_add_u32_e32 v3, v5, v3
	s_waitcnt vmcnt(0)
	v_add_co_u32_e32 v2, vcc, v6, v2
	v_addc_co_u32_e32 v3, vcc, v7, v3, vcc
	global_load_dwordx2 v[6:7], v[2:3], off glc
	s_waitcnt vmcnt(0)
	global_atomic_cmpswap_x2 v[2:3], v4, v[6:9], s[2:3] offset:24 glc
	s_waitcnt vmcnt(0)
	buffer_invl2
	buffer_wbinvl1_vol
	v_cmp_ne_u64_e32 vcc, v[2:3], v[8:9]
	s_and_saveexec_b64 s[6:7], vcc
	s_cbranch_execz .LBB1_173
; %bb.170:
	s_mov_b64 s[8:9], 0
.LBB1_171:                              ; =>This Inner Loop Header: Depth=1
	s_sleep 1
	global_load_dwordx2 v[6:7], v4, s[2:3] offset:40
	global_load_dwordx2 v[10:11], v4, s[2:3]
	v_pk_mov_b32 v[8:9], v[2:3], v[2:3] op_sel:[0,1]
	s_waitcnt vmcnt(1)
	v_and_b32_e32 v2, v6, v8
	s_waitcnt vmcnt(0)
	v_mad_u64_u32 v[2:3], s[10:11], v2, 24, v[10:11]
	v_and_b32_e32 v5, v7, v9
	v_mov_b32_e32 v6, v3
	v_mad_u64_u32 v[6:7], s[10:11], v5, 24, v[6:7]
	v_mov_b32_e32 v3, v6
	global_load_dwordx2 v[6:7], v[2:3], off glc
	s_waitcnt vmcnt(0)
	global_atomic_cmpswap_x2 v[2:3], v4, v[6:9], s[2:3] offset:24 glc
	s_waitcnt vmcnt(0)
	buffer_invl2
	buffer_wbinvl1_vol
	v_cmp_eq_u64_e32 vcc, v[2:3], v[8:9]
	s_or_b64 s[8:9], vcc, s[8:9]
	s_andn2_b64 exec, exec, s[8:9]
	s_cbranch_execnz .LBB1_171
; %bb.172:
	s_or_b64 exec, exec, s[8:9]
.LBB1_173:
	s_or_b64 exec, exec, s[6:7]
.LBB1_174:
	s_or_b64 exec, exec, s[4:5]
	v_mov_b32_e32 v10, 0
	global_load_dwordx2 v[8:9], v10, s[2:3] offset:40
	global_load_dwordx4 v[4:7], v10, s[2:3]
	v_readfirstlane_b32 s4, v2
	v_readfirstlane_b32 s5, v3
	s_mov_b64 s[6:7], exec
	s_waitcnt vmcnt(1)
	v_readfirstlane_b32 s8, v8
	v_readfirstlane_b32 s9, v9
	s_and_b64 s[8:9], s[4:5], s[8:9]
	s_mul_i32 s10, s9, 24
	s_mul_hi_u32 s11, s8, 24
	s_mul_i32 s12, s8, 24
	s_add_i32 s10, s11, s10
	v_mov_b32_e32 v2, s10
	s_waitcnt vmcnt(0)
	v_add_co_u32_e32 v8, vcc, s12, v4
	v_addc_co_u32_e32 v9, vcc, v5, v2, vcc
	s_and_saveexec_b64 s[10:11], s[0:1]
	s_cbranch_execz .LBB1_176
; %bb.175:
	v_pk_mov_b32 v[10:11], s[6:7], s[6:7] op_sel:[0,1]
	v_mov_b32_e32 v12, 2
	v_mov_b32_e32 v13, 1
	global_store_dwordx4 v[8:9], v[10:13], off offset:8
.LBB1_176:
	s_or_b64 exec, exec, s[10:11]
	s_lshl_b64 s[6:7], s[8:9], 12
	v_mov_b32_e32 v2, s7
	v_add_co_u32_e32 v10, vcc, s6, v6
	v_addc_co_u32_e32 v11, vcc, v7, v2, vcc
	s_movk_i32 s6, 0xff1f
	s_mov_b32 s8, 0
	v_and_or_b32 v0, v0, s6, 32
	v_cvt_f64_f32_e32 v[2:3], v38
	v_readfirstlane_b32 s6, v10
	v_readfirstlane_b32 s7, v11
	s_mov_b32 s9, s8
	v_add_co_u32_e32 v6, vcc, v10, v31
	s_mov_b32 s10, s8
	s_mov_b32 s11, s8
	s_nop 0
	global_store_dwordx4 v31, v[0:3], s[6:7]
	v_addc_co_u32_e32 v7, vcc, 0, v11, vcc
	v_pk_mov_b32 v[0:1], s[8:9], s[8:9] op_sel:[0,1]
	v_pk_mov_b32 v[2:3], s[10:11], s[10:11] op_sel:[0,1]
	global_store_dwordx4 v31, v[0:3], s[6:7] offset:16
	global_store_dwordx4 v31, v[0:3], s[6:7] offset:32
	;; [unrolled: 1-line block ×3, first 2 shown]
	s_and_saveexec_b64 s[6:7], s[0:1]
	s_cbranch_execz .LBB1_184
; %bb.177:
	v_mov_b32_e32 v10, 0
	global_load_dwordx2 v[14:15], v10, s[2:3] offset:32 glc
	global_load_dwordx2 v[0:1], v10, s[2:3] offset:40
	v_mov_b32_e32 v12, s4
	v_mov_b32_e32 v13, s5
	s_waitcnt vmcnt(0)
	v_readfirstlane_b32 s8, v0
	v_readfirstlane_b32 s9, v1
	s_and_b64 s[8:9], s[8:9], s[4:5]
	s_mul_i32 s9, s9, 24
	s_mul_hi_u32 s10, s8, 24
	s_mul_i32 s8, s8, 24
	s_add_i32 s9, s10, s9
	v_mov_b32_e32 v0, s9
	v_add_co_u32_e32 v4, vcc, s8, v4
	v_addc_co_u32_e32 v5, vcc, v5, v0, vcc
	global_store_dwordx2 v[4:5], v[14:15], off
	buffer_wbl2
	s_waitcnt vmcnt(0)
	global_atomic_cmpswap_x2 v[2:3], v10, v[12:15], s[2:3] offset:32 glc
	s_waitcnt vmcnt(0)
	v_cmp_ne_u64_e32 vcc, v[2:3], v[14:15]
	s_and_saveexec_b64 s[8:9], vcc
	s_cbranch_execz .LBB1_180
; %bb.178:
	s_mov_b64 s[10:11], 0
.LBB1_179:                              ; =>This Inner Loop Header: Depth=1
	s_sleep 1
	global_store_dwordx2 v[4:5], v[2:3], off
	v_mov_b32_e32 v0, s4
	v_mov_b32_e32 v1, s5
	buffer_wbl2
	s_waitcnt vmcnt(0)
	global_atomic_cmpswap_x2 v[0:1], v10, v[0:3], s[2:3] offset:32 glc
	s_waitcnt vmcnt(0)
	v_cmp_eq_u64_e32 vcc, v[0:1], v[2:3]
	s_or_b64 s[10:11], vcc, s[10:11]
	v_pk_mov_b32 v[2:3], v[0:1], v[0:1] op_sel:[0,1]
	s_andn2_b64 exec, exec, s[10:11]
	s_cbranch_execnz .LBB1_179
.LBB1_180:
	s_or_b64 exec, exec, s[8:9]
	v_mov_b32_e32 v3, 0
	global_load_dwordx2 v[0:1], v3, s[2:3] offset:16
	s_mov_b64 s[8:9], exec
	v_mbcnt_lo_u32_b32 v2, s8, 0
	v_mbcnt_hi_u32_b32 v2, s9, v2
	v_cmp_eq_u32_e32 vcc, 0, v2
	s_and_saveexec_b64 s[10:11], vcc
	s_cbranch_execz .LBB1_182
; %bb.181:
	s_bcnt1_i32_b64 s8, s[8:9]
	v_mov_b32_e32 v2, s8
	buffer_wbl2
	s_waitcnt vmcnt(0)
	global_atomic_add_x2 v[0:1], v[2:3], off offset:8
.LBB1_182:
	s_or_b64 exec, exec, s[10:11]
	s_waitcnt vmcnt(0)
	global_load_dwordx2 v[2:3], v[0:1], off offset:16
	s_waitcnt vmcnt(0)
	v_cmp_eq_u64_e32 vcc, 0, v[2:3]
	s_cbranch_vccnz .LBB1_184
; %bb.183:
	global_load_dword v0, v[0:1], off offset:24
	v_mov_b32_e32 v1, 0
	buffer_wbl2
	s_waitcnt vmcnt(0)
	global_store_dwordx2 v[2:3], v[0:1], off
	v_and_b32_e32 v0, 0xffffff, v0
	v_readfirstlane_b32 m0, v0
	s_sendmsg sendmsg(MSG_INTERRUPT)
.LBB1_184:
	s_or_b64 exec, exec, s[6:7]
	s_branch .LBB1_188
.LBB1_185:                              ;   in Loop: Header=BB1_188 Depth=1
	s_or_b64 exec, exec, s[6:7]
	v_readfirstlane_b32 s6, v0
	s_cmp_eq_u32 s6, 0
	s_cbranch_scc1 .LBB1_187
; %bb.186:                              ;   in Loop: Header=BB1_188 Depth=1
	s_sleep 1
	s_cbranch_execnz .LBB1_188
	s_branch .LBB1_190
.LBB1_187:
	s_branch .LBB1_190
.LBB1_188:                              ; =>This Inner Loop Header: Depth=1
	v_mov_b32_e32 v0, 1
	s_and_saveexec_b64 s[6:7], s[0:1]
	s_cbranch_execz .LBB1_185
; %bb.189:                              ;   in Loop: Header=BB1_188 Depth=1
	global_load_dword v0, v[8:9], off offset:20 glc
	s_waitcnt vmcnt(0)
	buffer_invl2
	buffer_wbinvl1_vol
	v_and_b32_e32 v0, 1, v0
	s_branch .LBB1_185
.LBB1_190:
	global_load_dwordx2 v[0:1], v[6:7], off
	s_and_saveexec_b64 s[6:7], s[0:1]
	s_cbranch_execz .LBB1_193
; %bb.191:
	v_mov_b32_e32 v8, 0
	global_load_dwordx2 v[6:7], v8, s[2:3] offset:40
	global_load_dwordx2 v[10:11], v8, s[2:3] offset:24 glc
	global_load_dwordx2 v[12:13], v8, s[2:3]
	v_mov_b32_e32 v3, s5
	s_mov_b64 s[0:1], 0
	s_waitcnt vmcnt(2)
	v_add_co_u32_e32 v5, vcc, 1, v6
	v_addc_co_u32_e32 v9, vcc, 0, v7, vcc
	v_add_co_u32_e32 v2, vcc, s4, v5
	v_addc_co_u32_e32 v3, vcc, v9, v3, vcc
	v_cmp_eq_u64_e32 vcc, 0, v[2:3]
	v_cndmask_b32_e32 v3, v3, v9, vcc
	v_cndmask_b32_e32 v2, v2, v5, vcc
	v_and_b32_e32 v5, v3, v7
	v_and_b32_e32 v6, v2, v6
	v_mul_lo_u32 v5, v5, 24
	v_mul_hi_u32 v7, v6, 24
	v_mul_lo_u32 v6, v6, 24
	v_add_u32_e32 v5, v7, v5
	s_waitcnt vmcnt(0)
	v_add_co_u32_e32 v6, vcc, v12, v6
	v_addc_co_u32_e32 v7, vcc, v13, v5, vcc
	v_mov_b32_e32 v4, v10
	global_store_dwordx2 v[6:7], v[10:11], off
	v_mov_b32_e32 v5, v11
	buffer_wbl2
	s_waitcnt vmcnt(0)
	global_atomic_cmpswap_x2 v[4:5], v8, v[2:5], s[2:3] offset:24 glc
	s_waitcnt vmcnt(0)
	v_cmp_ne_u64_e32 vcc, v[4:5], v[10:11]
	s_and_b64 exec, exec, vcc
	s_cbranch_execz .LBB1_193
.LBB1_192:                              ; =>This Inner Loop Header: Depth=1
	s_sleep 1
	global_store_dwordx2 v[6:7], v[4:5], off
	buffer_wbl2
	s_waitcnt vmcnt(0)
	global_atomic_cmpswap_x2 v[10:11], v8, v[2:5], s[2:3] offset:24 glc
	s_waitcnt vmcnt(0)
	v_cmp_eq_u64_e32 vcc, v[10:11], v[4:5]
	s_or_b64 s[0:1], vcc, s[0:1]
	v_pk_mov_b32 v[4:5], v[10:11], v[10:11] op_sel:[0,1]
	s_andn2_b64 exec, exec, s[0:1]
	s_cbranch_execnz .LBB1_192
.LBB1_193:
	s_or_b64 exec, exec, s[6:7]
	v_readfirstlane_b32 s0, v36
	v_cmp_eq_u32_e64 s[0:1], s0, v36
	v_pk_mov_b32 v[2:3], 0, 0
	s_and_saveexec_b64 s[4:5], s[0:1]
	s_cbranch_execz .LBB1_199
; %bb.194:
	v_mov_b32_e32 v4, 0
	global_load_dwordx2 v[8:9], v4, s[2:3] offset:24 glc
	s_waitcnt vmcnt(0)
	buffer_invl2
	buffer_wbinvl1_vol
	global_load_dwordx2 v[2:3], v4, s[2:3] offset:40
	global_load_dwordx2 v[6:7], v4, s[2:3]
	s_waitcnt vmcnt(1)
	v_and_b32_e32 v2, v2, v8
	v_and_b32_e32 v3, v3, v9
	v_mul_lo_u32 v3, v3, 24
	v_mul_hi_u32 v5, v2, 24
	v_mul_lo_u32 v2, v2, 24
	v_add_u32_e32 v3, v5, v3
	s_waitcnt vmcnt(0)
	v_add_co_u32_e32 v2, vcc, v6, v2
	v_addc_co_u32_e32 v3, vcc, v7, v3, vcc
	global_load_dwordx2 v[6:7], v[2:3], off glc
	s_waitcnt vmcnt(0)
	global_atomic_cmpswap_x2 v[2:3], v4, v[6:9], s[2:3] offset:24 glc
	s_waitcnt vmcnt(0)
	buffer_invl2
	buffer_wbinvl1_vol
	v_cmp_ne_u64_e32 vcc, v[2:3], v[8:9]
	s_and_saveexec_b64 s[6:7], vcc
	s_cbranch_execz .LBB1_198
; %bb.195:
	s_mov_b64 s[8:9], 0
.LBB1_196:                              ; =>This Inner Loop Header: Depth=1
	s_sleep 1
	global_load_dwordx2 v[6:7], v4, s[2:3] offset:40
	global_load_dwordx2 v[10:11], v4, s[2:3]
	v_pk_mov_b32 v[8:9], v[2:3], v[2:3] op_sel:[0,1]
	s_waitcnt vmcnt(1)
	v_and_b32_e32 v2, v6, v8
	s_waitcnt vmcnt(0)
	v_mad_u64_u32 v[2:3], s[10:11], v2, 24, v[10:11]
	v_and_b32_e32 v5, v7, v9
	v_mov_b32_e32 v6, v3
	v_mad_u64_u32 v[6:7], s[10:11], v5, 24, v[6:7]
	v_mov_b32_e32 v3, v6
	global_load_dwordx2 v[6:7], v[2:3], off glc
	s_waitcnt vmcnt(0)
	global_atomic_cmpswap_x2 v[2:3], v4, v[6:9], s[2:3] offset:24 glc
	s_waitcnt vmcnt(0)
	buffer_invl2
	buffer_wbinvl1_vol
	v_cmp_eq_u64_e32 vcc, v[2:3], v[8:9]
	s_or_b64 s[8:9], vcc, s[8:9]
	s_andn2_b64 exec, exec, s[8:9]
	s_cbranch_execnz .LBB1_196
; %bb.197:
	s_or_b64 exec, exec, s[8:9]
.LBB1_198:
	s_or_b64 exec, exec, s[6:7]
.LBB1_199:
	s_or_b64 exec, exec, s[4:5]
	v_mov_b32_e32 v10, 0
	global_load_dwordx2 v[8:9], v10, s[2:3] offset:40
	global_load_dwordx4 v[4:7], v10, s[2:3]
	v_readfirstlane_b32 s4, v2
	v_readfirstlane_b32 s5, v3
	s_mov_b64 s[6:7], exec
	s_waitcnt vmcnt(1)
	v_readfirstlane_b32 s8, v8
	v_readfirstlane_b32 s9, v9
	s_and_b64 s[8:9], s[4:5], s[8:9]
	s_mul_i32 s10, s9, 24
	s_mul_hi_u32 s11, s8, 24
	s_mul_i32 s12, s8, 24
	s_add_i32 s10, s11, s10
	v_mov_b32_e32 v2, s10
	s_waitcnt vmcnt(0)
	v_add_co_u32_e32 v8, vcc, s12, v4
	v_addc_co_u32_e32 v9, vcc, v5, v2, vcc
	s_and_saveexec_b64 s[10:11], s[0:1]
	s_cbranch_execz .LBB1_201
; %bb.200:
	v_pk_mov_b32 v[10:11], s[6:7], s[6:7] op_sel:[0,1]
	v_mov_b32_e32 v12, 2
	v_mov_b32_e32 v13, 1
	global_store_dwordx4 v[8:9], v[10:13], off offset:8
.LBB1_201:
	s_or_b64 exec, exec, s[10:11]
	s_lshl_b64 s[6:7], s[8:9], 12
	v_mov_b32_e32 v2, s7
	v_add_co_u32_e32 v10, vcc, s6, v6
	v_addc_co_u32_e32 v11, vcc, v7, v2, vcc
	s_movk_i32 s6, 0xff1f
	s_mov_b32 s8, 0
	v_and_or_b32 v0, v0, s6, 32
	v_cvt_f64_f32_e32 v[2:3], v37
	v_readfirstlane_b32 s6, v10
	v_readfirstlane_b32 s7, v11
	s_mov_b32 s9, s8
	v_add_co_u32_e32 v6, vcc, v10, v31
	s_mov_b32 s10, s8
	s_mov_b32 s11, s8
	s_nop 0
	global_store_dwordx4 v31, v[0:3], s[6:7]
	v_addc_co_u32_e32 v7, vcc, 0, v11, vcc
	v_pk_mov_b32 v[0:1], s[8:9], s[8:9] op_sel:[0,1]
	v_pk_mov_b32 v[2:3], s[10:11], s[10:11] op_sel:[0,1]
	global_store_dwordx4 v31, v[0:3], s[6:7] offset:16
	global_store_dwordx4 v31, v[0:3], s[6:7] offset:32
	;; [unrolled: 1-line block ×3, first 2 shown]
	s_and_saveexec_b64 s[6:7], s[0:1]
	s_cbranch_execz .LBB1_209
; %bb.202:
	v_mov_b32_e32 v10, 0
	global_load_dwordx2 v[14:15], v10, s[2:3] offset:32 glc
	global_load_dwordx2 v[0:1], v10, s[2:3] offset:40
	v_mov_b32_e32 v12, s4
	v_mov_b32_e32 v13, s5
	s_waitcnt vmcnt(0)
	v_readfirstlane_b32 s8, v0
	v_readfirstlane_b32 s9, v1
	s_and_b64 s[8:9], s[8:9], s[4:5]
	s_mul_i32 s9, s9, 24
	s_mul_hi_u32 s10, s8, 24
	s_mul_i32 s8, s8, 24
	s_add_i32 s9, s10, s9
	v_mov_b32_e32 v0, s9
	v_add_co_u32_e32 v4, vcc, s8, v4
	v_addc_co_u32_e32 v5, vcc, v5, v0, vcc
	global_store_dwordx2 v[4:5], v[14:15], off
	buffer_wbl2
	s_waitcnt vmcnt(0)
	global_atomic_cmpswap_x2 v[2:3], v10, v[12:15], s[2:3] offset:32 glc
	s_waitcnt vmcnt(0)
	v_cmp_ne_u64_e32 vcc, v[2:3], v[14:15]
	s_and_saveexec_b64 s[8:9], vcc
	s_cbranch_execz .LBB1_205
; %bb.203:
	s_mov_b64 s[10:11], 0
.LBB1_204:                              ; =>This Inner Loop Header: Depth=1
	s_sleep 1
	global_store_dwordx2 v[4:5], v[2:3], off
	v_mov_b32_e32 v0, s4
	v_mov_b32_e32 v1, s5
	buffer_wbl2
	s_waitcnt vmcnt(0)
	global_atomic_cmpswap_x2 v[0:1], v10, v[0:3], s[2:3] offset:32 glc
	s_waitcnt vmcnt(0)
	v_cmp_eq_u64_e32 vcc, v[0:1], v[2:3]
	s_or_b64 s[10:11], vcc, s[10:11]
	v_pk_mov_b32 v[2:3], v[0:1], v[0:1] op_sel:[0,1]
	s_andn2_b64 exec, exec, s[10:11]
	s_cbranch_execnz .LBB1_204
.LBB1_205:
	s_or_b64 exec, exec, s[8:9]
	v_mov_b32_e32 v3, 0
	global_load_dwordx2 v[0:1], v3, s[2:3] offset:16
	s_mov_b64 s[8:9], exec
	v_mbcnt_lo_u32_b32 v2, s8, 0
	v_mbcnt_hi_u32_b32 v2, s9, v2
	v_cmp_eq_u32_e32 vcc, 0, v2
	s_and_saveexec_b64 s[10:11], vcc
	s_cbranch_execz .LBB1_207
; %bb.206:
	s_bcnt1_i32_b64 s8, s[8:9]
	v_mov_b32_e32 v2, s8
	buffer_wbl2
	s_waitcnt vmcnt(0)
	global_atomic_add_x2 v[0:1], v[2:3], off offset:8
.LBB1_207:
	s_or_b64 exec, exec, s[10:11]
	s_waitcnt vmcnt(0)
	global_load_dwordx2 v[2:3], v[0:1], off offset:16
	s_waitcnt vmcnt(0)
	v_cmp_eq_u64_e32 vcc, 0, v[2:3]
	s_cbranch_vccnz .LBB1_209
; %bb.208:
	global_load_dword v0, v[0:1], off offset:24
	v_mov_b32_e32 v1, 0
	buffer_wbl2
	s_waitcnt vmcnt(0)
	global_store_dwordx2 v[2:3], v[0:1], off
	v_and_b32_e32 v0, 0xffffff, v0
	v_readfirstlane_b32 m0, v0
	s_sendmsg sendmsg(MSG_INTERRUPT)
.LBB1_209:
	s_or_b64 exec, exec, s[6:7]
	s_branch .LBB1_213
.LBB1_210:                              ;   in Loop: Header=BB1_213 Depth=1
	s_or_b64 exec, exec, s[6:7]
	v_readfirstlane_b32 s6, v0
	s_cmp_eq_u32 s6, 0
	s_cbranch_scc1 .LBB1_212
; %bb.211:                              ;   in Loop: Header=BB1_213 Depth=1
	s_sleep 1
	s_cbranch_execnz .LBB1_213
	s_branch .LBB1_215
.LBB1_212:
	s_branch .LBB1_215
.LBB1_213:                              ; =>This Inner Loop Header: Depth=1
	v_mov_b32_e32 v0, 1
	s_and_saveexec_b64 s[6:7], s[0:1]
	s_cbranch_execz .LBB1_210
; %bb.214:                              ;   in Loop: Header=BB1_213 Depth=1
	global_load_dword v0, v[8:9], off offset:20 glc
	s_waitcnt vmcnt(0)
	buffer_invl2
	buffer_wbinvl1_vol
	v_and_b32_e32 v0, 1, v0
	s_branch .LBB1_210
.LBB1_215:
	global_load_dwordx2 v[0:1], v[6:7], off
	s_and_saveexec_b64 s[6:7], s[0:1]
	s_cbranch_execz .LBB1_218
; %bb.216:
	v_mov_b32_e32 v8, 0
	global_load_dwordx2 v[6:7], v8, s[2:3] offset:40
	global_load_dwordx2 v[10:11], v8, s[2:3] offset:24 glc
	global_load_dwordx2 v[12:13], v8, s[2:3]
	v_mov_b32_e32 v3, s5
	s_mov_b64 s[0:1], 0
	s_waitcnt vmcnt(2)
	v_add_co_u32_e32 v5, vcc, 1, v6
	v_addc_co_u32_e32 v9, vcc, 0, v7, vcc
	v_add_co_u32_e32 v2, vcc, s4, v5
	v_addc_co_u32_e32 v3, vcc, v9, v3, vcc
	v_cmp_eq_u64_e32 vcc, 0, v[2:3]
	v_cndmask_b32_e32 v3, v3, v9, vcc
	v_cndmask_b32_e32 v2, v2, v5, vcc
	v_and_b32_e32 v5, v3, v7
	v_and_b32_e32 v6, v2, v6
	v_mul_lo_u32 v5, v5, 24
	v_mul_hi_u32 v7, v6, 24
	v_mul_lo_u32 v6, v6, 24
	v_add_u32_e32 v5, v7, v5
	s_waitcnt vmcnt(0)
	v_add_co_u32_e32 v6, vcc, v12, v6
	v_addc_co_u32_e32 v7, vcc, v13, v5, vcc
	v_mov_b32_e32 v4, v10
	global_store_dwordx2 v[6:7], v[10:11], off
	v_mov_b32_e32 v5, v11
	buffer_wbl2
	s_waitcnt vmcnt(0)
	global_atomic_cmpswap_x2 v[4:5], v8, v[2:5], s[2:3] offset:24 glc
	s_waitcnt vmcnt(0)
	v_cmp_ne_u64_e32 vcc, v[4:5], v[10:11]
	s_and_b64 exec, exec, vcc
	s_cbranch_execz .LBB1_218
.LBB1_217:                              ; =>This Inner Loop Header: Depth=1
	s_sleep 1
	global_store_dwordx2 v[6:7], v[4:5], off
	buffer_wbl2
	s_waitcnt vmcnt(0)
	global_atomic_cmpswap_x2 v[10:11], v8, v[2:5], s[2:3] offset:24 glc
	s_waitcnt vmcnt(0)
	v_cmp_eq_u64_e32 vcc, v[10:11], v[4:5]
	s_or_b64 s[0:1], vcc, s[0:1]
	v_pk_mov_b32 v[4:5], v[10:11], v[10:11] op_sel:[0,1]
	s_andn2_b64 exec, exec, s[0:1]
	s_cbranch_execnz .LBB1_217
.LBB1_218:
	s_or_b64 exec, exec, s[6:7]
	v_readfirstlane_b32 s0, v36
	v_cmp_eq_u32_e64 s[0:1], s0, v36
	v_pk_mov_b32 v[2:3], 0, 0
	s_and_saveexec_b64 s[4:5], s[0:1]
	s_cbranch_execz .LBB1_224
; %bb.219:
	v_mov_b32_e32 v4, 0
	global_load_dwordx2 v[8:9], v4, s[2:3] offset:24 glc
	s_waitcnt vmcnt(0)
	buffer_invl2
	buffer_wbinvl1_vol
	global_load_dwordx2 v[2:3], v4, s[2:3] offset:40
	global_load_dwordx2 v[6:7], v4, s[2:3]
	s_waitcnt vmcnt(1)
	v_and_b32_e32 v2, v2, v8
	v_and_b32_e32 v3, v3, v9
	v_mul_lo_u32 v3, v3, 24
	v_mul_hi_u32 v5, v2, 24
	v_mul_lo_u32 v2, v2, 24
	v_add_u32_e32 v3, v5, v3
	s_waitcnt vmcnt(0)
	v_add_co_u32_e32 v2, vcc, v6, v2
	v_addc_co_u32_e32 v3, vcc, v7, v3, vcc
	global_load_dwordx2 v[6:7], v[2:3], off glc
	s_waitcnt vmcnt(0)
	global_atomic_cmpswap_x2 v[2:3], v4, v[6:9], s[2:3] offset:24 glc
	s_waitcnt vmcnt(0)
	buffer_invl2
	buffer_wbinvl1_vol
	v_cmp_ne_u64_e32 vcc, v[2:3], v[8:9]
	s_and_saveexec_b64 s[6:7], vcc
	s_cbranch_execz .LBB1_223
; %bb.220:
	s_mov_b64 s[8:9], 0
.LBB1_221:                              ; =>This Inner Loop Header: Depth=1
	s_sleep 1
	global_load_dwordx2 v[6:7], v4, s[2:3] offset:40
	global_load_dwordx2 v[10:11], v4, s[2:3]
	v_pk_mov_b32 v[8:9], v[2:3], v[2:3] op_sel:[0,1]
	s_waitcnt vmcnt(1)
	v_and_b32_e32 v2, v6, v8
	s_waitcnt vmcnt(0)
	v_mad_u64_u32 v[2:3], s[10:11], v2, 24, v[10:11]
	v_and_b32_e32 v5, v7, v9
	v_mov_b32_e32 v6, v3
	v_mad_u64_u32 v[6:7], s[10:11], v5, 24, v[6:7]
	v_mov_b32_e32 v3, v6
	global_load_dwordx2 v[6:7], v[2:3], off glc
	s_waitcnt vmcnt(0)
	global_atomic_cmpswap_x2 v[2:3], v4, v[6:9], s[2:3] offset:24 glc
	s_waitcnt vmcnt(0)
	buffer_invl2
	buffer_wbinvl1_vol
	v_cmp_eq_u64_e32 vcc, v[2:3], v[8:9]
	s_or_b64 s[8:9], vcc, s[8:9]
	s_andn2_b64 exec, exec, s[8:9]
	s_cbranch_execnz .LBB1_221
; %bb.222:
	s_or_b64 exec, exec, s[8:9]
.LBB1_223:
	s_or_b64 exec, exec, s[6:7]
.LBB1_224:
	s_or_b64 exec, exec, s[4:5]
	v_mov_b32_e32 v10, 0
	global_load_dwordx2 v[8:9], v10, s[2:3] offset:40
	global_load_dwordx4 v[4:7], v10, s[2:3]
	v_readfirstlane_b32 s4, v2
	v_readfirstlane_b32 s5, v3
	s_mov_b64 s[6:7], exec
	s_waitcnt vmcnt(1)
	v_readfirstlane_b32 s8, v8
	v_readfirstlane_b32 s9, v9
	s_and_b64 s[8:9], s[4:5], s[8:9]
	s_mul_i32 s10, s9, 24
	s_mul_hi_u32 s11, s8, 24
	s_mul_i32 s12, s8, 24
	s_add_i32 s10, s11, s10
	v_mov_b32_e32 v2, s10
	s_waitcnt vmcnt(0)
	v_add_co_u32_e32 v8, vcc, s12, v4
	v_addc_co_u32_e32 v9, vcc, v5, v2, vcc
	s_and_saveexec_b64 s[10:11], s[0:1]
	s_cbranch_execz .LBB1_226
; %bb.225:
	v_pk_mov_b32 v[10:11], s[6:7], s[6:7] op_sel:[0,1]
	v_mov_b32_e32 v12, 2
	v_mov_b32_e32 v13, 1
	global_store_dwordx4 v[8:9], v[10:13], off offset:8
.LBB1_226:
	s_or_b64 exec, exec, s[10:11]
	s_lshl_b64 s[6:7], s[8:9], 12
	v_mov_b32_e32 v2, s7
	v_add_co_u32_e32 v6, vcc, s6, v6
	v_addc_co_u32_e32 v7, vcc, v7, v2, vcc
	s_movk_i32 s6, 0xff1d
	s_mov_b32 s8, 0
	v_and_or_b32 v0, v0, s6, 34
	v_cvt_f64_f32_e32 v[2:3], v29
	v_readfirstlane_b32 s6, v6
	v_readfirstlane_b32 s7, v7
	s_mov_b32 s9, s8
	s_mov_b32 s10, s8
	;; [unrolled: 1-line block ×3, first 2 shown]
	s_nop 1
	global_store_dwordx4 v31, v[0:3], s[6:7]
	s_nop 0
	v_pk_mov_b32 v[0:1], s[8:9], s[8:9] op_sel:[0,1]
	v_pk_mov_b32 v[2:3], s[10:11], s[10:11] op_sel:[0,1]
	global_store_dwordx4 v31, v[0:3], s[6:7] offset:16
	global_store_dwordx4 v31, v[0:3], s[6:7] offset:32
	;; [unrolled: 1-line block ×3, first 2 shown]
	s_and_saveexec_b64 s[6:7], s[0:1]
	s_cbranch_execz .LBB1_234
; %bb.227:
	v_mov_b32_e32 v6, 0
	global_load_dwordx2 v[12:13], v6, s[2:3] offset:32 glc
	global_load_dwordx2 v[0:1], v6, s[2:3] offset:40
	v_mov_b32_e32 v10, s4
	v_mov_b32_e32 v11, s5
	s_waitcnt vmcnt(0)
	v_readfirstlane_b32 s8, v0
	v_readfirstlane_b32 s9, v1
	s_and_b64 s[8:9], s[8:9], s[4:5]
	s_mul_i32 s9, s9, 24
	s_mul_hi_u32 s10, s8, 24
	s_mul_i32 s8, s8, 24
	s_add_i32 s9, s10, s9
	v_mov_b32_e32 v0, s9
	v_add_co_u32_e32 v4, vcc, s8, v4
	v_addc_co_u32_e32 v5, vcc, v5, v0, vcc
	global_store_dwordx2 v[4:5], v[12:13], off
	buffer_wbl2
	s_waitcnt vmcnt(0)
	global_atomic_cmpswap_x2 v[2:3], v6, v[10:13], s[2:3] offset:32 glc
	s_waitcnt vmcnt(0)
	v_cmp_ne_u64_e32 vcc, v[2:3], v[12:13]
	s_and_saveexec_b64 s[8:9], vcc
	s_cbranch_execz .LBB1_230
; %bb.228:
	s_mov_b64 s[10:11], 0
.LBB1_229:                              ; =>This Inner Loop Header: Depth=1
	s_sleep 1
	global_store_dwordx2 v[4:5], v[2:3], off
	v_mov_b32_e32 v0, s4
	v_mov_b32_e32 v1, s5
	buffer_wbl2
	s_waitcnt vmcnt(0)
	global_atomic_cmpswap_x2 v[0:1], v6, v[0:3], s[2:3] offset:32 glc
	s_waitcnt vmcnt(0)
	v_cmp_eq_u64_e32 vcc, v[0:1], v[2:3]
	s_or_b64 s[10:11], vcc, s[10:11]
	v_pk_mov_b32 v[2:3], v[0:1], v[0:1] op_sel:[0,1]
	s_andn2_b64 exec, exec, s[10:11]
	s_cbranch_execnz .LBB1_229
.LBB1_230:
	s_or_b64 exec, exec, s[8:9]
	v_mov_b32_e32 v3, 0
	global_load_dwordx2 v[0:1], v3, s[2:3] offset:16
	s_mov_b64 s[8:9], exec
	v_mbcnt_lo_u32_b32 v2, s8, 0
	v_mbcnt_hi_u32_b32 v2, s9, v2
	v_cmp_eq_u32_e32 vcc, 0, v2
	s_and_saveexec_b64 s[10:11], vcc
	s_cbranch_execz .LBB1_232
; %bb.231:
	s_bcnt1_i32_b64 s8, s[8:9]
	v_mov_b32_e32 v2, s8
	buffer_wbl2
	s_waitcnt vmcnt(0)
	global_atomic_add_x2 v[0:1], v[2:3], off offset:8
.LBB1_232:
	s_or_b64 exec, exec, s[10:11]
	s_waitcnt vmcnt(0)
	global_load_dwordx2 v[2:3], v[0:1], off offset:16
	s_waitcnt vmcnt(0)
	v_cmp_eq_u64_e32 vcc, 0, v[2:3]
	s_cbranch_vccnz .LBB1_234
; %bb.233:
	global_load_dword v0, v[0:1], off offset:24
	v_mov_b32_e32 v1, 0
	buffer_wbl2
	s_waitcnt vmcnt(0)
	global_store_dwordx2 v[2:3], v[0:1], off
	v_and_b32_e32 v0, 0xffffff, v0
	v_readfirstlane_b32 m0, v0
	s_sendmsg sendmsg(MSG_INTERRUPT)
.LBB1_234:
	s_or_b64 exec, exec, s[6:7]
	s_branch .LBB1_238
.LBB1_235:                              ;   in Loop: Header=BB1_238 Depth=1
	s_or_b64 exec, exec, s[6:7]
	v_readfirstlane_b32 s6, v0
	s_cmp_eq_u32 s6, 0
	s_cbranch_scc1 .LBB1_237
; %bb.236:                              ;   in Loop: Header=BB1_238 Depth=1
	s_sleep 1
	s_cbranch_execnz .LBB1_238
	s_branch .LBB1_240
.LBB1_237:
	s_branch .LBB1_240
.LBB1_238:                              ; =>This Inner Loop Header: Depth=1
	v_mov_b32_e32 v0, 1
	s_and_saveexec_b64 s[6:7], s[0:1]
	s_cbranch_execz .LBB1_235
; %bb.239:                              ;   in Loop: Header=BB1_238 Depth=1
	global_load_dword v0, v[8:9], off offset:20 glc
	s_waitcnt vmcnt(0)
	buffer_invl2
	buffer_wbinvl1_vol
	v_and_b32_e32 v0, 1, v0
	s_branch .LBB1_235
.LBB1_240:
	s_and_b64 exec, exec, s[0:1]
	s_cbranch_execz .LBB1_243
; %bb.241:
	v_mov_b32_e32 v6, 0
	global_load_dwordx2 v[4:5], v6, s[2:3] offset:40
	global_load_dwordx2 v[8:9], v6, s[2:3] offset:24 glc
	global_load_dwordx2 v[10:11], v6, s[2:3]
	v_mov_b32_e32 v1, s5
	s_mov_b64 s[0:1], 0
	s_waitcnt vmcnt(2)
	v_add_co_u32_e32 v3, vcc, 1, v4
	v_addc_co_u32_e32 v7, vcc, 0, v5, vcc
	v_add_co_u32_e32 v0, vcc, s4, v3
	v_addc_co_u32_e32 v1, vcc, v7, v1, vcc
	v_cmp_eq_u64_e32 vcc, 0, v[0:1]
	v_cndmask_b32_e32 v1, v1, v7, vcc
	v_cndmask_b32_e32 v0, v0, v3, vcc
	v_and_b32_e32 v3, v1, v5
	v_and_b32_e32 v4, v0, v4
	v_mul_lo_u32 v3, v3, 24
	v_mul_hi_u32 v5, v4, 24
	v_mul_lo_u32 v4, v4, 24
	v_add_u32_e32 v3, v5, v3
	s_waitcnt vmcnt(0)
	v_add_co_u32_e32 v4, vcc, v10, v4
	v_addc_co_u32_e32 v5, vcc, v11, v3, vcc
	v_mov_b32_e32 v2, v8
	global_store_dwordx2 v[4:5], v[8:9], off
	v_mov_b32_e32 v3, v9
	buffer_wbl2
	s_waitcnt vmcnt(0)
	global_atomic_cmpswap_x2 v[2:3], v6, v[0:3], s[2:3] offset:24 glc
	s_waitcnt vmcnt(0)
	v_cmp_ne_u64_e32 vcc, v[2:3], v[8:9]
	s_and_b64 exec, exec, vcc
	s_cbranch_execz .LBB1_243
.LBB1_242:                              ; =>This Inner Loop Header: Depth=1
	s_sleep 1
	global_store_dwordx2 v[4:5], v[2:3], off
	buffer_wbl2
	s_waitcnt vmcnt(0)
	global_atomic_cmpswap_x2 v[8:9], v6, v[0:3], s[2:3] offset:24 glc
	s_waitcnt vmcnt(0)
	v_cmp_eq_u64_e32 vcc, v[8:9], v[2:3]
	s_or_b64 s[0:1], vcc, s[0:1]
	v_pk_mov_b32 v[2:3], v[8:9], v[8:9] op_sel:[0,1]
	s_andn2_b64 exec, exec, s[0:1]
	s_cbranch_execnz .LBB1_242
.LBB1_243:
	s_endpgm
	.section	.rodata,"a",@progbits
	.p2align	6, 0x0
	.amdhsa_kernel _Z32check_int8_quantized_correctnessPaP6__halfS1_S0_S0_i
		.amdhsa_group_segment_fixed_size 0
		.amdhsa_private_segment_fixed_size 0
		.amdhsa_kernarg_size 288
		.amdhsa_user_sgpr_count 6
		.amdhsa_user_sgpr_private_segment_buffer 1
		.amdhsa_user_sgpr_dispatch_ptr 0
		.amdhsa_user_sgpr_queue_ptr 0
		.amdhsa_user_sgpr_kernarg_segment_ptr 1
		.amdhsa_user_sgpr_dispatch_id 0
		.amdhsa_user_sgpr_flat_scratch_init 0
		.amdhsa_user_sgpr_kernarg_preload_length 0
		.amdhsa_user_sgpr_kernarg_preload_offset 0
		.amdhsa_user_sgpr_private_segment_size 0
		.amdhsa_uses_dynamic_stack 0
		.amdhsa_system_sgpr_private_segment_wavefront_offset 0
		.amdhsa_system_sgpr_workgroup_id_x 1
		.amdhsa_system_sgpr_workgroup_id_y 0
		.amdhsa_system_sgpr_workgroup_id_z 0
		.amdhsa_system_sgpr_workgroup_info 0
		.amdhsa_system_vgpr_workitem_id 0
		.amdhsa_next_free_vgpr 39
		.amdhsa_next_free_sgpr 19
		.amdhsa_accum_offset 40
		.amdhsa_reserve_vcc 1
		.amdhsa_reserve_flat_scratch 0
		.amdhsa_float_round_mode_32 0
		.amdhsa_float_round_mode_16_64 0
		.amdhsa_float_denorm_mode_32 3
		.amdhsa_float_denorm_mode_16_64 3
		.amdhsa_dx10_clamp 1
		.amdhsa_ieee_mode 1
		.amdhsa_fp16_overflow 0
		.amdhsa_tg_split 0
		.amdhsa_exception_fp_ieee_invalid_op 0
		.amdhsa_exception_fp_denorm_src 0
		.amdhsa_exception_fp_ieee_div_zero 0
		.amdhsa_exception_fp_ieee_overflow 0
		.amdhsa_exception_fp_ieee_underflow 0
		.amdhsa_exception_fp_ieee_inexact 0
		.amdhsa_exception_int_div_zero 0
	.end_amdhsa_kernel
	.text
.Lfunc_end1:
	.size	_Z32check_int8_quantized_correctnessPaP6__halfS1_S0_S0_i, .Lfunc_end1-_Z32check_int8_quantized_correctnessPaP6__halfS1_S0_S0_i
                                        ; -- End function
	.section	.AMDGPU.csdata,"",@progbits
; Kernel info:
; codeLenInByte = 10108
; NumSgprs: 23
; NumVgprs: 39
; NumAgprs: 0
; TotalNumVgprs: 39
; ScratchSize: 0
; MemoryBound: 0
; FloatMode: 240
; IeeeMode: 1
; LDSByteSize: 0 bytes/workgroup (compile time only)
; SGPRBlocks: 2
; VGPRBlocks: 4
; NumSGPRsForWavesPerEU: 23
; NumVGPRsForWavesPerEU: 39
; AccumOffset: 40
; Occupancy: 8
; WaveLimiterHint : 1
; COMPUTE_PGM_RSRC2:SCRATCH_EN: 0
; COMPUTE_PGM_RSRC2:USER_SGPR: 6
; COMPUTE_PGM_RSRC2:TRAP_HANDLER: 0
; COMPUTE_PGM_RSRC2:TGID_X_EN: 1
; COMPUTE_PGM_RSRC2:TGID_Y_EN: 0
; COMPUTE_PGM_RSRC2:TGID_Z_EN: 0
; COMPUTE_PGM_RSRC2:TIDIG_COMP_CNT: 0
; COMPUTE_PGM_RSRC3_GFX90A:ACCUM_OFFSET: 9
; COMPUTE_PGM_RSRC3_GFX90A:TG_SPLIT: 0
	.text
	.protected	_Z32check_int4_quantized_correctnessP7uint4_2P6__halfS2_S1_S1_i ; -- Begin function _Z32check_int4_quantized_correctnessP7uint4_2P6__halfS2_S1_S1_i
	.globl	_Z32check_int4_quantized_correctnessP7uint4_2P6__halfS2_S1_S1_i
	.p2align	8
	.type	_Z32check_int4_quantized_correctnessP7uint4_2P6__halfS2_S1_S1_i,@function
_Z32check_int4_quantized_correctnessP7uint4_2P6__halfS2_S1_S1_i: ; @_Z32check_int4_quantized_correctnessP7uint4_2P6__halfS2_S1_S1_i
; %bb.0:
	s_load_dword s0, s[4:5], 0x2c
	s_load_dword s10, s[4:5], 0x1c
	s_add_u32 s8, s4, 32
	s_addc_u32 s9, s5, 0
	s_waitcnt lgkmcnt(0)
	s_and_b32 s0, s0, 0xffff
	s_mul_i32 s6, s6, s0
	v_add_u32_e32 v28, s6, v0
	s_lshl_b32 s0, s10, 1
	v_cmp_gt_i32_e32 vcc, s0, v28
	s_and_saveexec_b64 s[0:1], vcc
	s_cbranch_execz .LBB2_243
; %bb.1:
	s_load_dwordx4 s[0:3], s[4:5], 0x0
	s_load_dwordx2 s[6:7], s[4:5], 0x10
	s_cmp_lt_i32 s10, 1
	s_cbranch_scc1 .LBB2_4
; %bb.2:
	v_mov_b32_e32 v6, 0
	global_load_dword v1, v6, s[4:5] offset:24
	v_mul_lo_u32 v3, v28, s10
	s_waitcnt lgkmcnt(0)
	v_mov_b32_e32 v5, s1
	v_ashrrev_i32_e32 v7, 31, v3
	v_add_co_u32_e32 v4, vcc, s0, v3
	s_mov_b32 s1, s10
	v_addc_co_u32_e32 v5, vcc, v5, v7, vcc
	v_mov_b32_e32 v37, 0
	s_waitcnt vmcnt(0)
	v_cvt_f32_f16_sdwa v0, v1 dst_sel:DWORD dst_unused:UNUSED_PAD src0_sel:WORD_1
	v_cvt_f32_f16_e32 v2, v1
	v_mov_b32_e32 v1, v0
	v_mov_b32_e32 v3, v2
.LBB2_3:                                ; =>This Inner Loop Header: Depth=1
	global_load_ubyte v7, v[4:5], off
	global_load_dword v9, v6, s[2:3]
	s_add_i32 s1, s1, -1
	s_add_u32 s2, s2, 4
	v_add_co_u32_e32 v4, vcc, 1, v4
	s_addc_u32 s3, s3, 0
	v_addc_co_u32_e32 v5, vcc, 0, v5, vcc
	s_cmp_eq_u32 s1, 0
	s_waitcnt vmcnt(1)
	v_and_b32_e32 v10, 15, v7
	v_lshrrev_b16_e32 v7, 4, v7
	s_waitcnt vmcnt(0)
	v_cvt_f32_f16_e32 v8, v9
	v_cvt_f32_f16_sdwa v9, v9 dst_sel:DWORD dst_unused:UNUSED_PAD src0_sel:WORD_1
	v_cvt_f32_ubyte0_e32 v11, v7
	v_cvt_f32_ubyte0_e32 v10, v10
	v_pk_add_f32 v[10:11], v[10:11], v[0:1] neg_lo:[0,1] neg_hi:[0,1]
	v_pk_mul_f32 v[10:11], v[10:11], v[2:3]
	v_pk_mul_f32 v[8:9], v[10:11], v[8:9]
	v_add_f32_e32 v7, v37, v8
	v_add_f32_e32 v37, v9, v7
	s_cbranch_scc0 .LBB2_3
	s_branch .LBB2_5
.LBB2_4:
	v_mov_b32_e32 v37, 0
.LBB2_5:
	v_ashrrev_i32_e32 v29, 31, v28
	v_lshlrev_b64 v[0:1], 1, v[28:29]
	s_waitcnt lgkmcnt(0)
	v_mov_b32_e32 v2, s7
	v_add_co_u32_e32 v0, vcc, s6, v0
	v_addc_co_u32_e32 v1, vcc, v2, v1, vcc
	global_load_ushort v2, v[0:1], off
	v_cvt_f64_i32_e32 v[0:1], s10
	v_ldexp_f64 v[0:1], v[0:1], -3
	v_ldexp_f64 v[0:1], v[0:1], -8
	v_cvt_f32_f64_e32 v0, v[0:1]
	s_waitcnt vmcnt(0)
	v_cvt_f32_f16_e32 v38, v2
	v_sub_f32_e32 v29, v37, v38
	v_cmp_gt_f32_e32 vcc, v29, v0
	v_cmp_lt_f32_e64 s[0:1], v29, -v0
	s_or_b64 s[0:1], vcc, s[0:1]
	s_and_b64 exec, exec, s[0:1]
	s_cbranch_execz .LBB2_243
; %bb.6:
	s_load_dwordx2 s[2:3], s[8:9], 0x50
	v_mbcnt_lo_u32_b32 v0, -1, 0
	v_mbcnt_hi_u32_b32 v36, -1, v0
	v_readfirstlane_b32 s0, v36
	v_cmp_eq_u32_e64 s[0:1], s0, v36
	v_pk_mov_b32 v[6:7], 0, 0
	s_and_saveexec_b64 s[4:5], s[0:1]
	s_cbranch_execz .LBB2_12
; %bb.7:
	v_mov_b32_e32 v0, 0
	s_waitcnt lgkmcnt(0)
	global_load_dwordx2 v[4:5], v0, s[2:3] offset:24 glc
	s_waitcnt vmcnt(0)
	buffer_invl2
	buffer_wbinvl1_vol
	global_load_dwordx2 v[2:3], v0, s[2:3] offset:40
	global_load_dwordx2 v[6:7], v0, s[2:3]
	s_waitcnt vmcnt(1)
	v_and_b32_e32 v1, v2, v4
	v_and_b32_e32 v2, v3, v5
	v_mul_lo_u32 v2, v2, 24
	v_mul_hi_u32 v3, v1, 24
	v_mul_lo_u32 v1, v1, 24
	v_add_u32_e32 v3, v3, v2
	s_waitcnt vmcnt(0)
	v_add_co_u32_e32 v2, vcc, v6, v1
	v_addc_co_u32_e32 v3, vcc, v7, v3, vcc
	global_load_dwordx2 v[2:3], v[2:3], off glc
	s_waitcnt vmcnt(0)
	global_atomic_cmpswap_x2 v[6:7], v0, v[2:5], s[2:3] offset:24 glc
	s_waitcnt vmcnt(0)
	buffer_invl2
	buffer_wbinvl1_vol
	v_cmp_ne_u64_e32 vcc, v[6:7], v[4:5]
	s_and_saveexec_b64 s[6:7], vcc
	s_cbranch_execz .LBB2_11
; %bb.8:
	s_mov_b64 s[8:9], 0
.LBB2_9:                                ; =>This Inner Loop Header: Depth=1
	s_sleep 1
	global_load_dwordx2 v[2:3], v0, s[2:3] offset:40
	global_load_dwordx2 v[8:9], v0, s[2:3]
	v_pk_mov_b32 v[4:5], v[6:7], v[6:7] op_sel:[0,1]
	s_waitcnt vmcnt(1)
	v_and_b32_e32 v2, v2, v4
	v_and_b32_e32 v1, v3, v5
	s_waitcnt vmcnt(0)
	v_mad_u64_u32 v[2:3], s[10:11], v2, 24, v[8:9]
	v_mov_b32_e32 v6, v3
	v_mad_u64_u32 v[6:7], s[10:11], v1, 24, v[6:7]
	v_mov_b32_e32 v3, v6
	global_load_dwordx2 v[2:3], v[2:3], off glc
	s_waitcnt vmcnt(0)
	global_atomic_cmpswap_x2 v[6:7], v0, v[2:5], s[2:3] offset:24 glc
	s_waitcnt vmcnt(0)
	buffer_invl2
	buffer_wbinvl1_vol
	v_cmp_eq_u64_e32 vcc, v[6:7], v[4:5]
	s_or_b64 s[8:9], vcc, s[8:9]
	s_andn2_b64 exec, exec, s[8:9]
	s_cbranch_execnz .LBB2_9
; %bb.10:
	s_or_b64 exec, exec, s[8:9]
.LBB2_11:
	s_or_b64 exec, exec, s[6:7]
.LBB2_12:
	s_or_b64 exec, exec, s[4:5]
	v_mov_b32_e32 v5, 0
	s_waitcnt lgkmcnt(0)
	global_load_dwordx2 v[8:9], v5, s[2:3] offset:40
	global_load_dwordx4 v[0:3], v5, s[2:3]
	v_readfirstlane_b32 s4, v6
	v_readfirstlane_b32 s5, v7
	s_mov_b64 s[6:7], exec
	s_waitcnt vmcnt(1)
	v_readfirstlane_b32 s8, v8
	v_readfirstlane_b32 s9, v9
	s_and_b64 s[8:9], s[4:5], s[8:9]
	s_mul_i32 s10, s9, 24
	s_mul_hi_u32 s11, s8, 24
	s_mul_i32 s12, s8, 24
	s_add_i32 s10, s11, s10
	v_mov_b32_e32 v4, s10
	s_waitcnt vmcnt(0)
	v_add_co_u32_e32 v8, vcc, s12, v0
	v_addc_co_u32_e32 v9, vcc, v1, v4, vcc
	s_and_saveexec_b64 s[10:11], s[0:1]
	s_cbranch_execz .LBB2_14
; %bb.13:
	v_pk_mov_b32 v[10:11], s[6:7], s[6:7] op_sel:[0,1]
	v_mov_b32_e32 v12, 2
	v_mov_b32_e32 v13, 1
	global_store_dwordx4 v[8:9], v[10:13], off offset:8
.LBB2_14:
	s_or_b64 exec, exec, s[10:11]
	s_lshl_b64 s[6:7], s[8:9], 12
	v_mov_b32_e32 v4, s7
	v_add_co_u32_e32 v2, vcc, s6, v2
	v_addc_co_u32_e32 v3, vcc, v3, v4, vcc
	s_mov_b32 s8, 0
	v_lshlrev_b32_e32 v31, 6, v36
	v_add_co_u32_e32 v10, vcc, v2, v31
	v_mov_b32_e32 v4, 33
	v_mov_b32_e32 v6, v5
	v_mov_b32_e32 v7, v5
	v_readfirstlane_b32 s6, v2
	v_readfirstlane_b32 s7, v3
	s_mov_b32 s9, s8
	v_addc_co_u32_e32 v11, vcc, 0, v3, vcc
	s_mov_b32 s10, s8
	s_mov_b32 s11, s8
	s_nop 0
	global_store_dwordx4 v31, v[4:7], s[6:7]
	v_pk_mov_b32 v[2:3], s[8:9], s[8:9] op_sel:[0,1]
	v_pk_mov_b32 v[4:5], s[10:11], s[10:11] op_sel:[0,1]
	global_store_dwordx4 v31, v[2:5], s[6:7] offset:16
	global_store_dwordx4 v31, v[2:5], s[6:7] offset:32
	;; [unrolled: 1-line block ×3, first 2 shown]
	s_and_saveexec_b64 s[6:7], s[0:1]
	s_cbranch_execz .LBB2_22
; %bb.15:
	v_mov_b32_e32 v6, 0
	global_load_dwordx2 v[14:15], v6, s[2:3] offset:32 glc
	global_load_dwordx2 v[2:3], v6, s[2:3] offset:40
	v_mov_b32_e32 v12, s4
	v_mov_b32_e32 v13, s5
	s_waitcnt vmcnt(0)
	v_and_b32_e32 v2, s4, v2
	v_and_b32_e32 v3, s5, v3
	v_mul_lo_u32 v3, v3, 24
	v_mul_hi_u32 v4, v2, 24
	v_mul_lo_u32 v2, v2, 24
	v_add_u32_e32 v3, v4, v3
	v_add_co_u32_e32 v4, vcc, v0, v2
	v_addc_co_u32_e32 v5, vcc, v1, v3, vcc
	global_store_dwordx2 v[4:5], v[14:15], off
	buffer_wbl2
	s_waitcnt vmcnt(0)
	global_atomic_cmpswap_x2 v[2:3], v6, v[12:15], s[2:3] offset:32 glc
	s_waitcnt vmcnt(0)
	v_cmp_ne_u64_e32 vcc, v[2:3], v[14:15]
	s_and_saveexec_b64 s[8:9], vcc
	s_cbranch_execz .LBB2_18
; %bb.16:
	s_mov_b64 s[10:11], 0
.LBB2_17:                               ; =>This Inner Loop Header: Depth=1
	s_sleep 1
	global_store_dwordx2 v[4:5], v[2:3], off
	v_mov_b32_e32 v0, s4
	v_mov_b32_e32 v1, s5
	buffer_wbl2
	s_waitcnt vmcnt(0)
	global_atomic_cmpswap_x2 v[0:1], v6, v[0:3], s[2:3] offset:32 glc
	s_waitcnt vmcnt(0)
	v_cmp_eq_u64_e32 vcc, v[0:1], v[2:3]
	s_or_b64 s[10:11], vcc, s[10:11]
	v_pk_mov_b32 v[2:3], v[0:1], v[0:1] op_sel:[0,1]
	s_andn2_b64 exec, exec, s[10:11]
	s_cbranch_execnz .LBB2_17
.LBB2_18:
	s_or_b64 exec, exec, s[8:9]
	v_mov_b32_e32 v3, 0
	global_load_dwordx2 v[0:1], v3, s[2:3] offset:16
	s_mov_b64 s[8:9], exec
	v_mbcnt_lo_u32_b32 v2, s8, 0
	v_mbcnt_hi_u32_b32 v2, s9, v2
	v_cmp_eq_u32_e32 vcc, 0, v2
	s_and_saveexec_b64 s[10:11], vcc
	s_cbranch_execz .LBB2_20
; %bb.19:
	s_bcnt1_i32_b64 s8, s[8:9]
	v_mov_b32_e32 v2, s8
	buffer_wbl2
	s_waitcnt vmcnt(0)
	global_atomic_add_x2 v[0:1], v[2:3], off offset:8
.LBB2_20:
	s_or_b64 exec, exec, s[10:11]
	s_waitcnt vmcnt(0)
	global_load_dwordx2 v[2:3], v[0:1], off offset:16
	s_waitcnt vmcnt(0)
	v_cmp_eq_u64_e32 vcc, 0, v[2:3]
	s_cbranch_vccnz .LBB2_22
; %bb.21:
	global_load_dword v0, v[0:1], off offset:24
	v_mov_b32_e32 v1, 0
	buffer_wbl2
	s_waitcnt vmcnt(0)
	global_store_dwordx2 v[2:3], v[0:1], off
	v_and_b32_e32 v0, 0xffffff, v0
	v_readfirstlane_b32 m0, v0
	s_sendmsg sendmsg(MSG_INTERRUPT)
.LBB2_22:
	s_or_b64 exec, exec, s[6:7]
	s_branch .LBB2_26
.LBB2_23:                               ;   in Loop: Header=BB2_26 Depth=1
	s_or_b64 exec, exec, s[6:7]
	v_readfirstlane_b32 s6, v0
	s_cmp_eq_u32 s6, 0
	s_cbranch_scc1 .LBB2_25
; %bb.24:                               ;   in Loop: Header=BB2_26 Depth=1
	s_sleep 1
	s_cbranch_execnz .LBB2_26
	s_branch .LBB2_28
.LBB2_25:
	s_branch .LBB2_28
.LBB2_26:                               ; =>This Inner Loop Header: Depth=1
	v_mov_b32_e32 v0, 1
	s_and_saveexec_b64 s[6:7], s[0:1]
	s_cbranch_execz .LBB2_23
; %bb.27:                               ;   in Loop: Header=BB2_26 Depth=1
	global_load_dword v0, v[8:9], off offset:20 glc
	s_waitcnt vmcnt(0)
	buffer_invl2
	buffer_wbinvl1_vol
	v_and_b32_e32 v0, 1, v0
	s_branch .LBB2_23
.LBB2_28:
	global_load_dwordx2 v[0:1], v[10:11], off
	s_and_saveexec_b64 s[6:7], s[0:1]
	s_cbranch_execz .LBB2_31
; %bb.29:
	v_mov_b32_e32 v8, 0
	global_load_dwordx2 v[6:7], v8, s[2:3] offset:40
	global_load_dwordx2 v[10:11], v8, s[2:3] offset:24 glc
	global_load_dwordx2 v[12:13], v8, s[2:3]
	v_mov_b32_e32 v3, s5
	s_mov_b64 s[0:1], 0
	s_waitcnt vmcnt(2)
	v_add_co_u32_e32 v5, vcc, 1, v6
	v_addc_co_u32_e32 v9, vcc, 0, v7, vcc
	v_add_co_u32_e32 v2, vcc, s4, v5
	v_addc_co_u32_e32 v3, vcc, v9, v3, vcc
	v_cmp_eq_u64_e32 vcc, 0, v[2:3]
	v_cndmask_b32_e32 v3, v3, v9, vcc
	v_cndmask_b32_e32 v2, v2, v5, vcc
	v_and_b32_e32 v5, v3, v7
	v_and_b32_e32 v6, v2, v6
	v_mul_lo_u32 v5, v5, 24
	v_mul_hi_u32 v7, v6, 24
	v_mul_lo_u32 v6, v6, 24
	v_add_u32_e32 v5, v7, v5
	s_waitcnt vmcnt(0)
	v_add_co_u32_e32 v6, vcc, v12, v6
	v_addc_co_u32_e32 v7, vcc, v13, v5, vcc
	v_mov_b32_e32 v4, v10
	global_store_dwordx2 v[6:7], v[10:11], off
	v_mov_b32_e32 v5, v11
	buffer_wbl2
	s_waitcnt vmcnt(0)
	global_atomic_cmpswap_x2 v[4:5], v8, v[2:5], s[2:3] offset:24 glc
	s_waitcnt vmcnt(0)
	v_cmp_ne_u64_e32 vcc, v[4:5], v[10:11]
	s_and_b64 exec, exec, vcc
	s_cbranch_execz .LBB2_31
.LBB2_30:                               ; =>This Inner Loop Header: Depth=1
	s_sleep 1
	global_store_dwordx2 v[6:7], v[4:5], off
	buffer_wbl2
	s_waitcnt vmcnt(0)
	global_atomic_cmpswap_x2 v[10:11], v8, v[2:5], s[2:3] offset:24 glc
	s_waitcnt vmcnt(0)
	v_cmp_eq_u64_e32 vcc, v[10:11], v[4:5]
	s_or_b64 s[0:1], vcc, s[0:1]
	v_pk_mov_b32 v[4:5], v[10:11], v[10:11] op_sel:[0,1]
	s_andn2_b64 exec, exec, s[0:1]
	s_cbranch_execnz .LBB2_30
.LBB2_31:
	s_or_b64 exec, exec, s[6:7]
	s_getpc_b64 s[4:5]
	s_add_u32 s4, s4, .str@rel32@lo+4
	s_addc_u32 s5, s5, .str@rel32@hi+12
	s_cmp_lg_u64 s[4:5], 0
	s_cbranch_scc0 .LBB2_116
; %bb.32:
	s_waitcnt vmcnt(0)
	v_and_b32_e32 v30, 2, v0
	v_mov_b32_e32 v33, 0
	v_and_b32_e32 v2, -3, v0
	v_mov_b32_e32 v3, v1
	s_mov_b64 s[6:7], 31
	v_mov_b32_e32 v6, 2
	v_mov_b32_e32 v7, 1
	s_branch .LBB2_34
.LBB2_33:                               ;   in Loop: Header=BB2_34 Depth=1
	s_or_b64 exec, exec, s[12:13]
	s_sub_u32 s6, s6, s8
	s_subb_u32 s7, s7, s9
	s_add_u32 s4, s4, s8
	s_addc_u32 s5, s5, s9
	s_cmp_lg_u64 s[6:7], 0
	s_cbranch_scc0 .LBB2_115
.LBB2_34:                               ; =>This Loop Header: Depth=1
                                        ;     Child Loop BB2_37 Depth 2
                                        ;     Child Loop BB2_44 Depth 2
	;; [unrolled: 1-line block ×11, first 2 shown]
	v_cmp_lt_u64_e64 s[0:1], s[6:7], 56
	s_and_b64 s[0:1], s[0:1], exec
	v_cmp_gt_u64_e64 s[0:1], s[6:7], 7
	s_cselect_b32 s9, s7, 0
	s_cselect_b32 s8, s6, 56
	s_and_b64 vcc, exec, s[0:1]
	s_cbranch_vccnz .LBB2_39
; %bb.35:                               ;   in Loop: Header=BB2_34 Depth=1
	s_mov_b64 s[0:1], 0
	s_cmp_eq_u64 s[6:7], 0
	v_pk_mov_b32 v[10:11], 0, 0
	s_cbranch_scc1 .LBB2_38
; %bb.36:                               ;   in Loop: Header=BB2_34 Depth=1
	s_lshl_b64 s[10:11], s[8:9], 3
	s_mov_b64 s[12:13], 0
	v_pk_mov_b32 v[10:11], 0, 0
	s_mov_b64 s[14:15], s[4:5]
.LBB2_37:                               ;   Parent Loop BB2_34 Depth=1
                                        ; =>  This Inner Loop Header: Depth=2
	global_load_ubyte v4, v33, s[14:15]
	s_waitcnt vmcnt(0)
	v_and_b32_e32 v32, 0xffff, v4
	v_lshlrev_b64 v[4:5], s12, v[32:33]
	s_add_u32 s12, s12, 8
	s_addc_u32 s13, s13, 0
	s_add_u32 s14, s14, 1
	s_addc_u32 s15, s15, 0
	v_or_b32_e32 v10, v4, v10
	s_cmp_lg_u32 s10, s12
	v_or_b32_e32 v11, v5, v11
	s_cbranch_scc1 .LBB2_37
.LBB2_38:                               ;   in Loop: Header=BB2_34 Depth=1
	s_mov_b32 s14, 0
	s_andn2_b64 vcc, exec, s[0:1]
	s_mov_b64 s[0:1], s[4:5]
	s_cbranch_vccz .LBB2_40
	s_branch .LBB2_41
.LBB2_39:                               ;   in Loop: Header=BB2_34 Depth=1
                                        ; implicit-def: $vgpr10_vgpr11
                                        ; implicit-def: $sgpr14
	s_mov_b64 s[0:1], s[4:5]
.LBB2_40:                               ;   in Loop: Header=BB2_34 Depth=1
	global_load_dwordx2 v[10:11], v33, s[4:5]
	s_add_i32 s14, s8, -8
	s_add_u32 s0, s4, 8
	s_addc_u32 s1, s5, 0
.LBB2_41:                               ;   in Loop: Header=BB2_34 Depth=1
	s_cmp_gt_u32 s14, 7
	s_cbranch_scc1 .LBB2_45
; %bb.42:                               ;   in Loop: Header=BB2_34 Depth=1
	s_cmp_eq_u32 s14, 0
	s_cbranch_scc1 .LBB2_46
; %bb.43:                               ;   in Loop: Header=BB2_34 Depth=1
	s_mov_b64 s[10:11], 0
	v_pk_mov_b32 v[12:13], 0, 0
	s_mov_b64 s[12:13], 0
.LBB2_44:                               ;   Parent Loop BB2_34 Depth=1
                                        ; =>  This Inner Loop Header: Depth=2
	s_add_u32 s16, s0, s12
	s_addc_u32 s17, s1, s13
	global_load_ubyte v4, v33, s[16:17]
	s_add_u32 s12, s12, 1
	s_addc_u32 s13, s13, 0
	s_waitcnt vmcnt(0)
	v_and_b32_e32 v32, 0xffff, v4
	v_lshlrev_b64 v[4:5], s10, v[32:33]
	s_add_u32 s10, s10, 8
	s_addc_u32 s11, s11, 0
	v_or_b32_e32 v12, v4, v12
	s_cmp_lg_u32 s14, s12
	v_or_b32_e32 v13, v5, v13
	s_cbranch_scc1 .LBB2_44
	s_branch .LBB2_47
.LBB2_45:                               ;   in Loop: Header=BB2_34 Depth=1
                                        ; implicit-def: $vgpr12_vgpr13
                                        ; implicit-def: $sgpr15
	s_branch .LBB2_48
.LBB2_46:                               ;   in Loop: Header=BB2_34 Depth=1
	v_pk_mov_b32 v[12:13], 0, 0
.LBB2_47:                               ;   in Loop: Header=BB2_34 Depth=1
	s_mov_b32 s15, 0
	s_cbranch_execnz .LBB2_49
.LBB2_48:                               ;   in Loop: Header=BB2_34 Depth=1
	global_load_dwordx2 v[12:13], v33, s[0:1]
	s_add_i32 s15, s14, -8
	s_add_u32 s0, s0, 8
	s_addc_u32 s1, s1, 0
.LBB2_49:                               ;   in Loop: Header=BB2_34 Depth=1
	s_cmp_gt_u32 s15, 7
	s_cbranch_scc1 .LBB2_53
; %bb.50:                               ;   in Loop: Header=BB2_34 Depth=1
	s_cmp_eq_u32 s15, 0
	s_cbranch_scc1 .LBB2_54
; %bb.51:                               ;   in Loop: Header=BB2_34 Depth=1
	s_mov_b64 s[10:11], 0
	v_pk_mov_b32 v[14:15], 0, 0
	s_mov_b64 s[12:13], 0
.LBB2_52:                               ;   Parent Loop BB2_34 Depth=1
                                        ; =>  This Inner Loop Header: Depth=2
	s_add_u32 s16, s0, s12
	s_addc_u32 s17, s1, s13
	global_load_ubyte v4, v33, s[16:17]
	s_add_u32 s12, s12, 1
	s_addc_u32 s13, s13, 0
	s_waitcnt vmcnt(0)
	v_and_b32_e32 v32, 0xffff, v4
	v_lshlrev_b64 v[4:5], s10, v[32:33]
	s_add_u32 s10, s10, 8
	s_addc_u32 s11, s11, 0
	v_or_b32_e32 v14, v4, v14
	s_cmp_lg_u32 s15, s12
	v_or_b32_e32 v15, v5, v15
	s_cbranch_scc1 .LBB2_52
	s_branch .LBB2_55
.LBB2_53:                               ;   in Loop: Header=BB2_34 Depth=1
                                        ; implicit-def: $sgpr14
	s_branch .LBB2_56
.LBB2_54:                               ;   in Loop: Header=BB2_34 Depth=1
	v_pk_mov_b32 v[14:15], 0, 0
.LBB2_55:                               ;   in Loop: Header=BB2_34 Depth=1
	s_mov_b32 s14, 0
	s_cbranch_execnz .LBB2_57
.LBB2_56:                               ;   in Loop: Header=BB2_34 Depth=1
	global_load_dwordx2 v[14:15], v33, s[0:1]
	s_add_i32 s14, s15, -8
	s_add_u32 s0, s0, 8
	s_addc_u32 s1, s1, 0
.LBB2_57:                               ;   in Loop: Header=BB2_34 Depth=1
	s_cmp_gt_u32 s14, 7
	s_cbranch_scc1 .LBB2_61
; %bb.58:                               ;   in Loop: Header=BB2_34 Depth=1
	s_cmp_eq_u32 s14, 0
	s_cbranch_scc1 .LBB2_62
; %bb.59:                               ;   in Loop: Header=BB2_34 Depth=1
	s_mov_b64 s[10:11], 0
	v_pk_mov_b32 v[16:17], 0, 0
	s_mov_b64 s[12:13], 0
.LBB2_60:                               ;   Parent Loop BB2_34 Depth=1
                                        ; =>  This Inner Loop Header: Depth=2
	s_add_u32 s16, s0, s12
	s_addc_u32 s17, s1, s13
	global_load_ubyte v4, v33, s[16:17]
	s_add_u32 s12, s12, 1
	s_addc_u32 s13, s13, 0
	s_waitcnt vmcnt(0)
	v_and_b32_e32 v32, 0xffff, v4
	v_lshlrev_b64 v[4:5], s10, v[32:33]
	s_add_u32 s10, s10, 8
	s_addc_u32 s11, s11, 0
	v_or_b32_e32 v16, v4, v16
	s_cmp_lg_u32 s14, s12
	v_or_b32_e32 v17, v5, v17
	s_cbranch_scc1 .LBB2_60
	s_branch .LBB2_63
.LBB2_61:                               ;   in Loop: Header=BB2_34 Depth=1
                                        ; implicit-def: $vgpr16_vgpr17
                                        ; implicit-def: $sgpr15
	s_branch .LBB2_64
.LBB2_62:                               ;   in Loop: Header=BB2_34 Depth=1
	v_pk_mov_b32 v[16:17], 0, 0
.LBB2_63:                               ;   in Loop: Header=BB2_34 Depth=1
	s_mov_b32 s15, 0
	s_cbranch_execnz .LBB2_65
.LBB2_64:                               ;   in Loop: Header=BB2_34 Depth=1
	global_load_dwordx2 v[16:17], v33, s[0:1]
	s_add_i32 s15, s14, -8
	s_add_u32 s0, s0, 8
	s_addc_u32 s1, s1, 0
.LBB2_65:                               ;   in Loop: Header=BB2_34 Depth=1
	s_cmp_gt_u32 s15, 7
	s_cbranch_scc1 .LBB2_69
; %bb.66:                               ;   in Loop: Header=BB2_34 Depth=1
	s_cmp_eq_u32 s15, 0
	s_cbranch_scc1 .LBB2_70
; %bb.67:                               ;   in Loop: Header=BB2_34 Depth=1
	s_mov_b64 s[10:11], 0
	v_pk_mov_b32 v[18:19], 0, 0
	s_mov_b64 s[12:13], 0
.LBB2_68:                               ;   Parent Loop BB2_34 Depth=1
                                        ; =>  This Inner Loop Header: Depth=2
	s_add_u32 s16, s0, s12
	s_addc_u32 s17, s1, s13
	global_load_ubyte v4, v33, s[16:17]
	s_add_u32 s12, s12, 1
	s_addc_u32 s13, s13, 0
	s_waitcnt vmcnt(0)
	v_and_b32_e32 v32, 0xffff, v4
	v_lshlrev_b64 v[4:5], s10, v[32:33]
	s_add_u32 s10, s10, 8
	s_addc_u32 s11, s11, 0
	v_or_b32_e32 v18, v4, v18
	s_cmp_lg_u32 s15, s12
	v_or_b32_e32 v19, v5, v19
	s_cbranch_scc1 .LBB2_68
	s_branch .LBB2_71
.LBB2_69:                               ;   in Loop: Header=BB2_34 Depth=1
                                        ; implicit-def: $sgpr14
	s_branch .LBB2_72
.LBB2_70:                               ;   in Loop: Header=BB2_34 Depth=1
	v_pk_mov_b32 v[18:19], 0, 0
.LBB2_71:                               ;   in Loop: Header=BB2_34 Depth=1
	s_mov_b32 s14, 0
	s_cbranch_execnz .LBB2_73
.LBB2_72:                               ;   in Loop: Header=BB2_34 Depth=1
	global_load_dwordx2 v[18:19], v33, s[0:1]
	s_add_i32 s14, s15, -8
	s_add_u32 s0, s0, 8
	s_addc_u32 s1, s1, 0
.LBB2_73:                               ;   in Loop: Header=BB2_34 Depth=1
	s_cmp_gt_u32 s14, 7
	s_cbranch_scc1 .LBB2_77
; %bb.74:                               ;   in Loop: Header=BB2_34 Depth=1
	s_cmp_eq_u32 s14, 0
	s_cbranch_scc1 .LBB2_78
; %bb.75:                               ;   in Loop: Header=BB2_34 Depth=1
	s_mov_b64 s[10:11], 0
	v_pk_mov_b32 v[20:21], 0, 0
	s_mov_b64 s[12:13], 0
.LBB2_76:                               ;   Parent Loop BB2_34 Depth=1
                                        ; =>  This Inner Loop Header: Depth=2
	s_add_u32 s16, s0, s12
	s_addc_u32 s17, s1, s13
	global_load_ubyte v4, v33, s[16:17]
	s_add_u32 s12, s12, 1
	s_addc_u32 s13, s13, 0
	s_waitcnt vmcnt(0)
	v_and_b32_e32 v32, 0xffff, v4
	v_lshlrev_b64 v[4:5], s10, v[32:33]
	s_add_u32 s10, s10, 8
	s_addc_u32 s11, s11, 0
	v_or_b32_e32 v20, v4, v20
	s_cmp_lg_u32 s14, s12
	v_or_b32_e32 v21, v5, v21
	s_cbranch_scc1 .LBB2_76
	s_branch .LBB2_79
.LBB2_77:                               ;   in Loop: Header=BB2_34 Depth=1
                                        ; implicit-def: $vgpr20_vgpr21
                                        ; implicit-def: $sgpr15
	s_branch .LBB2_80
.LBB2_78:                               ;   in Loop: Header=BB2_34 Depth=1
	v_pk_mov_b32 v[20:21], 0, 0
.LBB2_79:                               ;   in Loop: Header=BB2_34 Depth=1
	s_mov_b32 s15, 0
	s_cbranch_execnz .LBB2_81
.LBB2_80:                               ;   in Loop: Header=BB2_34 Depth=1
	global_load_dwordx2 v[20:21], v33, s[0:1]
	s_add_i32 s15, s14, -8
	s_add_u32 s0, s0, 8
	s_addc_u32 s1, s1, 0
.LBB2_81:                               ;   in Loop: Header=BB2_34 Depth=1
	s_cmp_gt_u32 s15, 7
	s_cbranch_scc1 .LBB2_85
; %bb.82:                               ;   in Loop: Header=BB2_34 Depth=1
	s_cmp_eq_u32 s15, 0
	s_cbranch_scc1 .LBB2_86
; %bb.83:                               ;   in Loop: Header=BB2_34 Depth=1
	s_mov_b64 s[10:11], 0
	v_pk_mov_b32 v[22:23], 0, 0
	s_mov_b64 s[12:13], s[0:1]
.LBB2_84:                               ;   Parent Loop BB2_34 Depth=1
                                        ; =>  This Inner Loop Header: Depth=2
	global_load_ubyte v4, v33, s[12:13]
	s_add_i32 s15, s15, -1
	s_waitcnt vmcnt(0)
	v_and_b32_e32 v32, 0xffff, v4
	v_lshlrev_b64 v[4:5], s10, v[32:33]
	s_add_u32 s10, s10, 8
	s_addc_u32 s11, s11, 0
	s_add_u32 s12, s12, 1
	s_addc_u32 s13, s13, 0
	v_or_b32_e32 v22, v4, v22
	s_cmp_lg_u32 s15, 0
	v_or_b32_e32 v23, v5, v23
	s_cbranch_scc1 .LBB2_84
	s_branch .LBB2_87
.LBB2_85:                               ;   in Loop: Header=BB2_34 Depth=1
	s_branch .LBB2_88
.LBB2_86:                               ;   in Loop: Header=BB2_34 Depth=1
	v_pk_mov_b32 v[22:23], 0, 0
.LBB2_87:                               ;   in Loop: Header=BB2_34 Depth=1
	s_cbranch_execnz .LBB2_89
.LBB2_88:                               ;   in Loop: Header=BB2_34 Depth=1
	global_load_dwordx2 v[22:23], v33, s[0:1]
.LBB2_89:                               ;   in Loop: Header=BB2_34 Depth=1
	v_readfirstlane_b32 s0, v36
	v_cmp_eq_u32_e64 s[0:1], s0, v36
	s_waitcnt vmcnt(0)
	v_pk_mov_b32 v[4:5], 0, 0
	s_and_saveexec_b64 s[10:11], s[0:1]
	s_cbranch_execz .LBB2_95
; %bb.90:                               ;   in Loop: Header=BB2_34 Depth=1
	global_load_dwordx2 v[26:27], v33, s[2:3] offset:24 glc
	s_waitcnt vmcnt(0)
	buffer_invl2
	buffer_wbinvl1_vol
	global_load_dwordx2 v[4:5], v33, s[2:3] offset:40
	global_load_dwordx2 v[8:9], v33, s[2:3]
	s_waitcnt vmcnt(1)
	v_and_b32_e32 v4, v4, v26
	v_and_b32_e32 v5, v5, v27
	v_mul_lo_u32 v5, v5, 24
	v_mul_hi_u32 v24, v4, 24
	v_mul_lo_u32 v4, v4, 24
	v_add_u32_e32 v5, v24, v5
	s_waitcnt vmcnt(0)
	v_add_co_u32_e32 v4, vcc, v8, v4
	v_addc_co_u32_e32 v5, vcc, v9, v5, vcc
	global_load_dwordx2 v[24:25], v[4:5], off glc
	s_waitcnt vmcnt(0)
	global_atomic_cmpswap_x2 v[4:5], v33, v[24:27], s[2:3] offset:24 glc
	s_waitcnt vmcnt(0)
	buffer_invl2
	buffer_wbinvl1_vol
	v_cmp_ne_u64_e32 vcc, v[4:5], v[26:27]
	s_and_saveexec_b64 s[12:13], vcc
	s_cbranch_execz .LBB2_94
; %bb.91:                               ;   in Loop: Header=BB2_34 Depth=1
	s_mov_b64 s[14:15], 0
.LBB2_92:                               ;   Parent Loop BB2_34 Depth=1
                                        ; =>  This Inner Loop Header: Depth=2
	s_sleep 1
	global_load_dwordx2 v[8:9], v33, s[2:3] offset:40
	global_load_dwordx2 v[24:25], v33, s[2:3]
	v_pk_mov_b32 v[26:27], v[4:5], v[4:5] op_sel:[0,1]
	s_waitcnt vmcnt(1)
	v_and_b32_e32 v4, v8, v26
	s_waitcnt vmcnt(0)
	v_mad_u64_u32 v[4:5], s[16:17], v4, 24, v[24:25]
	v_and_b32_e32 v9, v9, v27
	v_mov_b32_e32 v8, v5
	v_mad_u64_u32 v[8:9], s[16:17], v9, 24, v[8:9]
	v_mov_b32_e32 v5, v8
	global_load_dwordx2 v[24:25], v[4:5], off glc
	s_waitcnt vmcnt(0)
	global_atomic_cmpswap_x2 v[4:5], v33, v[24:27], s[2:3] offset:24 glc
	s_waitcnt vmcnt(0)
	buffer_invl2
	buffer_wbinvl1_vol
	v_cmp_eq_u64_e32 vcc, v[4:5], v[26:27]
	s_or_b64 s[14:15], vcc, s[14:15]
	s_andn2_b64 exec, exec, s[14:15]
	s_cbranch_execnz .LBB2_92
; %bb.93:                               ;   in Loop: Header=BB2_34 Depth=1
	s_or_b64 exec, exec, s[14:15]
.LBB2_94:                               ;   in Loop: Header=BB2_34 Depth=1
	s_or_b64 exec, exec, s[12:13]
.LBB2_95:                               ;   in Loop: Header=BB2_34 Depth=1
	s_or_b64 exec, exec, s[10:11]
	global_load_dwordx2 v[8:9], v33, s[2:3] offset:40
	global_load_dwordx4 v[24:27], v33, s[2:3]
	v_readfirstlane_b32 s10, v4
	v_readfirstlane_b32 s11, v5
	s_mov_b64 s[12:13], exec
	s_waitcnt vmcnt(1)
	v_readfirstlane_b32 s14, v8
	v_readfirstlane_b32 s15, v9
	s_and_b64 s[14:15], s[10:11], s[14:15]
	s_mul_i32 s16, s15, 24
	s_mul_hi_u32 s17, s14, 24
	s_mul_i32 s18, s14, 24
	s_add_i32 s16, s17, s16
	v_mov_b32_e32 v4, s16
	s_waitcnt vmcnt(0)
	v_add_co_u32_e32 v34, vcc, s18, v24
	v_addc_co_u32_e32 v35, vcc, v25, v4, vcc
	s_and_saveexec_b64 s[16:17], s[0:1]
	s_cbranch_execz .LBB2_97
; %bb.96:                               ;   in Loop: Header=BB2_34 Depth=1
	v_pk_mov_b32 v[4:5], s[12:13], s[12:13] op_sel:[0,1]
	global_store_dwordx4 v[34:35], v[4:7], off offset:8
.LBB2_97:                               ;   in Loop: Header=BB2_34 Depth=1
	s_or_b64 exec, exec, s[16:17]
	s_lshl_b64 s[12:13], s[14:15], 12
	v_mov_b32_e32 v4, s13
	v_add_co_u32_e32 v26, vcc, s12, v26
	v_addc_co_u32_e32 v27, vcc, v27, v4, vcc
	v_or_b32_e32 v5, v2, v30
	v_cmp_gt_u64_e64 vcc, s[6:7], 56
	s_lshl_b32 s12, s8, 2
	v_cndmask_b32_e32 v2, v5, v2, vcc
	s_add_i32 s12, s12, 28
	v_or_b32_e32 v4, 0, v3
	s_and_b32 s12, s12, 0x1e0
	v_and_b32_e32 v2, 0xffffff1f, v2
	v_cndmask_b32_e32 v9, v4, v3, vcc
	v_or_b32_e32 v8, s12, v2
	v_readfirstlane_b32 s12, v26
	v_readfirstlane_b32 s13, v27
	s_nop 4
	global_store_dwordx4 v31, v[8:11], s[12:13]
	global_store_dwordx4 v31, v[12:15], s[12:13] offset:16
	global_store_dwordx4 v31, v[16:19], s[12:13] offset:32
	;; [unrolled: 1-line block ×3, first 2 shown]
	s_and_saveexec_b64 s[12:13], s[0:1]
	s_cbranch_execz .LBB2_105
; %bb.98:                               ;   in Loop: Header=BB2_34 Depth=1
	global_load_dwordx2 v[12:13], v33, s[2:3] offset:32 glc
	global_load_dwordx2 v[2:3], v33, s[2:3] offset:40
	v_mov_b32_e32 v10, s10
	v_mov_b32_e32 v11, s11
	s_waitcnt vmcnt(0)
	v_readfirstlane_b32 s14, v2
	v_readfirstlane_b32 s15, v3
	s_and_b64 s[14:15], s[14:15], s[10:11]
	s_mul_i32 s15, s15, 24
	s_mul_hi_u32 s16, s14, 24
	s_mul_i32 s14, s14, 24
	s_add_i32 s15, s16, s15
	v_mov_b32_e32 v2, s15
	v_add_co_u32_e32 v8, vcc, s14, v24
	v_addc_co_u32_e32 v9, vcc, v25, v2, vcc
	global_store_dwordx2 v[8:9], v[12:13], off
	buffer_wbl2
	s_waitcnt vmcnt(0)
	global_atomic_cmpswap_x2 v[4:5], v33, v[10:13], s[2:3] offset:32 glc
	s_waitcnt vmcnt(0)
	v_cmp_ne_u64_e32 vcc, v[4:5], v[12:13]
	s_and_saveexec_b64 s[14:15], vcc
	s_cbranch_execz .LBB2_101
; %bb.99:                               ;   in Loop: Header=BB2_34 Depth=1
	s_mov_b64 s[16:17], 0
.LBB2_100:                              ;   Parent Loop BB2_34 Depth=1
                                        ; =>  This Inner Loop Header: Depth=2
	s_sleep 1
	global_store_dwordx2 v[8:9], v[4:5], off
	v_mov_b32_e32 v2, s10
	v_mov_b32_e32 v3, s11
	buffer_wbl2
	s_waitcnt vmcnt(0)
	global_atomic_cmpswap_x2 v[2:3], v33, v[2:5], s[2:3] offset:32 glc
	s_waitcnt vmcnt(0)
	v_cmp_eq_u64_e32 vcc, v[2:3], v[4:5]
	s_or_b64 s[16:17], vcc, s[16:17]
	v_pk_mov_b32 v[4:5], v[2:3], v[2:3] op_sel:[0,1]
	s_andn2_b64 exec, exec, s[16:17]
	s_cbranch_execnz .LBB2_100
.LBB2_101:                              ;   in Loop: Header=BB2_34 Depth=1
	s_or_b64 exec, exec, s[14:15]
	global_load_dwordx2 v[2:3], v33, s[2:3] offset:16
	s_mov_b64 s[16:17], exec
	v_mbcnt_lo_u32_b32 v4, s16, 0
	v_mbcnt_hi_u32_b32 v4, s17, v4
	v_cmp_eq_u32_e32 vcc, 0, v4
	s_and_saveexec_b64 s[14:15], vcc
	s_cbranch_execz .LBB2_103
; %bb.102:                              ;   in Loop: Header=BB2_34 Depth=1
	s_bcnt1_i32_b64 s16, s[16:17]
	v_mov_b32_e32 v32, s16
	buffer_wbl2
	s_waitcnt vmcnt(0)
	global_atomic_add_x2 v[2:3], v[32:33], off offset:8
.LBB2_103:                              ;   in Loop: Header=BB2_34 Depth=1
	s_or_b64 exec, exec, s[14:15]
	s_waitcnt vmcnt(0)
	global_load_dwordx2 v[4:5], v[2:3], off offset:16
	s_waitcnt vmcnt(0)
	v_cmp_eq_u64_e32 vcc, 0, v[4:5]
	s_cbranch_vccnz .LBB2_105
; %bb.104:                              ;   in Loop: Header=BB2_34 Depth=1
	global_load_dword v32, v[2:3], off offset:24
	s_waitcnt vmcnt(0)
	v_and_b32_e32 v2, 0xffffff, v32
	v_readfirstlane_b32 m0, v2
	buffer_wbl2
	global_store_dwordx2 v[4:5], v[32:33], off
	s_sendmsg sendmsg(MSG_INTERRUPT)
.LBB2_105:                              ;   in Loop: Header=BB2_34 Depth=1
	s_or_b64 exec, exec, s[12:13]
	v_add_co_u32_e32 v2, vcc, v26, v31
	v_addc_co_u32_e32 v3, vcc, 0, v27, vcc
	s_branch .LBB2_109
.LBB2_106:                              ;   in Loop: Header=BB2_109 Depth=2
	s_or_b64 exec, exec, s[12:13]
	v_readfirstlane_b32 s12, v4
	s_cmp_eq_u32 s12, 0
	s_cbranch_scc1 .LBB2_108
; %bb.107:                              ;   in Loop: Header=BB2_109 Depth=2
	s_sleep 1
	s_cbranch_execnz .LBB2_109
	s_branch .LBB2_111
.LBB2_108:                              ;   in Loop: Header=BB2_34 Depth=1
	s_branch .LBB2_111
.LBB2_109:                              ;   Parent Loop BB2_34 Depth=1
                                        ; =>  This Inner Loop Header: Depth=2
	v_mov_b32_e32 v4, 1
	s_and_saveexec_b64 s[12:13], s[0:1]
	s_cbranch_execz .LBB2_106
; %bb.110:                              ;   in Loop: Header=BB2_109 Depth=2
	global_load_dword v4, v[34:35], off offset:20 glc
	s_waitcnt vmcnt(0)
	buffer_invl2
	buffer_wbinvl1_vol
	v_and_b32_e32 v4, 1, v4
	s_branch .LBB2_106
.LBB2_111:                              ;   in Loop: Header=BB2_34 Depth=1
	global_load_dwordx4 v[2:5], v[2:3], off
	s_and_saveexec_b64 s[12:13], s[0:1]
	s_cbranch_execz .LBB2_33
; %bb.112:                              ;   in Loop: Header=BB2_34 Depth=1
	global_load_dwordx2 v[4:5], v33, s[2:3] offset:40
	global_load_dwordx2 v[12:13], v33, s[2:3] offset:24 glc
	global_load_dwordx2 v[14:15], v33, s[2:3]
	v_mov_b32_e32 v9, s11
	s_waitcnt vmcnt(2)
	v_add_co_u32_e32 v11, vcc, 1, v4
	v_addc_co_u32_e32 v16, vcc, 0, v5, vcc
	v_add_co_u32_e32 v8, vcc, s10, v11
	v_addc_co_u32_e32 v9, vcc, v16, v9, vcc
	v_cmp_eq_u64_e32 vcc, 0, v[8:9]
	v_cndmask_b32_e32 v9, v9, v16, vcc
	v_cndmask_b32_e32 v8, v8, v11, vcc
	v_and_b32_e32 v5, v9, v5
	v_and_b32_e32 v4, v8, v4
	v_mul_lo_u32 v5, v5, 24
	v_mul_hi_u32 v11, v4, 24
	v_mul_lo_u32 v4, v4, 24
	v_add_u32_e32 v5, v11, v5
	s_waitcnt vmcnt(0)
	v_add_co_u32_e32 v4, vcc, v14, v4
	v_addc_co_u32_e32 v5, vcc, v15, v5, vcc
	v_mov_b32_e32 v10, v12
	global_store_dwordx2 v[4:5], v[12:13], off
	v_mov_b32_e32 v11, v13
	buffer_wbl2
	s_waitcnt vmcnt(0)
	global_atomic_cmpswap_x2 v[10:11], v33, v[8:11], s[2:3] offset:24 glc
	s_waitcnt vmcnt(0)
	v_cmp_ne_u64_e32 vcc, v[10:11], v[12:13]
	s_and_b64 exec, exec, vcc
	s_cbranch_execz .LBB2_33
; %bb.113:                              ;   in Loop: Header=BB2_34 Depth=1
	s_mov_b64 s[0:1], 0
.LBB2_114:                              ;   Parent Loop BB2_34 Depth=1
                                        ; =>  This Inner Loop Header: Depth=2
	s_sleep 1
	global_store_dwordx2 v[4:5], v[10:11], off
	buffer_wbl2
	s_waitcnt vmcnt(0)
	global_atomic_cmpswap_x2 v[12:13], v33, v[8:11], s[2:3] offset:24 glc
	s_waitcnt vmcnt(0)
	v_cmp_eq_u64_e32 vcc, v[12:13], v[10:11]
	s_or_b64 s[0:1], vcc, s[0:1]
	v_pk_mov_b32 v[10:11], v[12:13], v[12:13] op_sel:[0,1]
	s_andn2_b64 exec, exec, s[0:1]
	s_cbranch_execnz .LBB2_114
	s_branch .LBB2_33
.LBB2_115:
	s_branch .LBB2_143
.LBB2_116:
                                        ; implicit-def: $vgpr2_vgpr3
	s_cbranch_execz .LBB2_143
; %bb.117:
	v_readfirstlane_b32 s0, v36
	v_cmp_eq_u32_e64 s[0:1], s0, v36
	v_pk_mov_b32 v[8:9], 0, 0
	s_and_saveexec_b64 s[4:5], s[0:1]
	s_cbranch_execz .LBB2_123
; %bb.118:
	s_waitcnt vmcnt(0)
	v_mov_b32_e32 v2, 0
	global_load_dwordx2 v[6:7], v2, s[2:3] offset:24 glc
	s_waitcnt vmcnt(0)
	buffer_invl2
	buffer_wbinvl1_vol
	global_load_dwordx2 v[4:5], v2, s[2:3] offset:40
	global_load_dwordx2 v[8:9], v2, s[2:3]
	s_waitcnt vmcnt(1)
	v_and_b32_e32 v3, v4, v6
	v_and_b32_e32 v4, v5, v7
	v_mul_lo_u32 v4, v4, 24
	v_mul_hi_u32 v5, v3, 24
	v_mul_lo_u32 v3, v3, 24
	v_add_u32_e32 v5, v5, v4
	s_waitcnt vmcnt(0)
	v_add_co_u32_e32 v4, vcc, v8, v3
	v_addc_co_u32_e32 v5, vcc, v9, v5, vcc
	global_load_dwordx2 v[4:5], v[4:5], off glc
	s_waitcnt vmcnt(0)
	global_atomic_cmpswap_x2 v[8:9], v2, v[4:7], s[2:3] offset:24 glc
	s_waitcnt vmcnt(0)
	buffer_invl2
	buffer_wbinvl1_vol
	v_cmp_ne_u64_e32 vcc, v[8:9], v[6:7]
	s_and_saveexec_b64 s[6:7], vcc
	s_cbranch_execz .LBB2_122
; %bb.119:
	s_mov_b64 s[8:9], 0
.LBB2_120:                              ; =>This Inner Loop Header: Depth=1
	s_sleep 1
	global_load_dwordx2 v[4:5], v2, s[2:3] offset:40
	global_load_dwordx2 v[10:11], v2, s[2:3]
	v_pk_mov_b32 v[6:7], v[8:9], v[8:9] op_sel:[0,1]
	s_waitcnt vmcnt(1)
	v_and_b32_e32 v4, v4, v6
	v_and_b32_e32 v3, v5, v7
	s_waitcnt vmcnt(0)
	v_mad_u64_u32 v[4:5], s[10:11], v4, 24, v[10:11]
	v_mov_b32_e32 v8, v5
	v_mad_u64_u32 v[8:9], s[10:11], v3, 24, v[8:9]
	v_mov_b32_e32 v5, v8
	global_load_dwordx2 v[4:5], v[4:5], off glc
	s_waitcnt vmcnt(0)
	global_atomic_cmpswap_x2 v[8:9], v2, v[4:7], s[2:3] offset:24 glc
	s_waitcnt vmcnt(0)
	buffer_invl2
	buffer_wbinvl1_vol
	v_cmp_eq_u64_e32 vcc, v[8:9], v[6:7]
	s_or_b64 s[8:9], vcc, s[8:9]
	s_andn2_b64 exec, exec, s[8:9]
	s_cbranch_execnz .LBB2_120
; %bb.121:
	s_or_b64 exec, exec, s[8:9]
.LBB2_122:
	s_or_b64 exec, exec, s[6:7]
.LBB2_123:
	s_or_b64 exec, exec, s[4:5]
	s_waitcnt vmcnt(0)
	v_mov_b32_e32 v2, 0
	global_load_dwordx2 v[10:11], v2, s[2:3] offset:40
	global_load_dwordx4 v[4:7], v2, s[2:3]
	v_readfirstlane_b32 s4, v8
	v_readfirstlane_b32 s5, v9
	s_mov_b64 s[6:7], exec
	s_waitcnt vmcnt(1)
	v_readfirstlane_b32 s8, v10
	v_readfirstlane_b32 s9, v11
	s_and_b64 s[8:9], s[4:5], s[8:9]
	s_mul_i32 s10, s9, 24
	s_mul_hi_u32 s11, s8, 24
	s_mul_i32 s12, s8, 24
	s_add_i32 s10, s11, s10
	v_mov_b32_e32 v3, s10
	s_waitcnt vmcnt(0)
	v_add_co_u32_e32 v8, vcc, s12, v4
	v_addc_co_u32_e32 v9, vcc, v5, v3, vcc
	s_and_saveexec_b64 s[10:11], s[0:1]
	s_cbranch_execz .LBB2_125
; %bb.124:
	v_pk_mov_b32 v[10:11], s[6:7], s[6:7] op_sel:[0,1]
	v_mov_b32_e32 v12, 2
	v_mov_b32_e32 v13, 1
	global_store_dwordx4 v[8:9], v[10:13], off offset:8
.LBB2_125:
	s_or_b64 exec, exec, s[10:11]
	s_lshl_b64 s[6:7], s[8:9], 12
	v_mov_b32_e32 v3, s7
	v_add_co_u32_e32 v10, vcc, s6, v6
	v_addc_co_u32_e32 v11, vcc, v7, v3, vcc
	s_movk_i32 s6, 0xff1f
	s_mov_b32 s8, 0
	v_and_or_b32 v0, v0, s6, 32
	v_mov_b32_e32 v3, v2
	v_readfirstlane_b32 s6, v10
	v_readfirstlane_b32 s7, v11
	s_mov_b32 s9, s8
	v_add_co_u32_e32 v6, vcc, v10, v31
	s_mov_b32 s10, s8
	s_mov_b32 s11, s8
	s_nop 0
	global_store_dwordx4 v31, v[0:3], s[6:7]
	v_addc_co_u32_e32 v7, vcc, 0, v11, vcc
	v_pk_mov_b32 v[0:1], s[8:9], s[8:9] op_sel:[0,1]
	v_pk_mov_b32 v[2:3], s[10:11], s[10:11] op_sel:[0,1]
	global_store_dwordx4 v31, v[0:3], s[6:7] offset:16
	global_store_dwordx4 v31, v[0:3], s[6:7] offset:32
	;; [unrolled: 1-line block ×3, first 2 shown]
	s_and_saveexec_b64 s[6:7], s[0:1]
	s_cbranch_execz .LBB2_133
; %bb.126:
	v_mov_b32_e32 v10, 0
	global_load_dwordx2 v[14:15], v10, s[2:3] offset:32 glc
	global_load_dwordx2 v[0:1], v10, s[2:3] offset:40
	v_mov_b32_e32 v12, s4
	v_mov_b32_e32 v13, s5
	s_waitcnt vmcnt(0)
	v_readfirstlane_b32 s8, v0
	v_readfirstlane_b32 s9, v1
	s_and_b64 s[8:9], s[8:9], s[4:5]
	s_mul_i32 s9, s9, 24
	s_mul_hi_u32 s10, s8, 24
	s_mul_i32 s8, s8, 24
	s_add_i32 s9, s10, s9
	v_mov_b32_e32 v0, s9
	v_add_co_u32_e32 v4, vcc, s8, v4
	v_addc_co_u32_e32 v5, vcc, v5, v0, vcc
	global_store_dwordx2 v[4:5], v[14:15], off
	buffer_wbl2
	s_waitcnt vmcnt(0)
	global_atomic_cmpswap_x2 v[2:3], v10, v[12:15], s[2:3] offset:32 glc
	s_waitcnt vmcnt(0)
	v_cmp_ne_u64_e32 vcc, v[2:3], v[14:15]
	s_and_saveexec_b64 s[8:9], vcc
	s_cbranch_execz .LBB2_129
; %bb.127:
	s_mov_b64 s[10:11], 0
.LBB2_128:                              ; =>This Inner Loop Header: Depth=1
	s_sleep 1
	global_store_dwordx2 v[4:5], v[2:3], off
	v_mov_b32_e32 v0, s4
	v_mov_b32_e32 v1, s5
	buffer_wbl2
	s_waitcnt vmcnt(0)
	global_atomic_cmpswap_x2 v[0:1], v10, v[0:3], s[2:3] offset:32 glc
	s_waitcnt vmcnt(0)
	v_cmp_eq_u64_e32 vcc, v[0:1], v[2:3]
	s_or_b64 s[10:11], vcc, s[10:11]
	v_pk_mov_b32 v[2:3], v[0:1], v[0:1] op_sel:[0,1]
	s_andn2_b64 exec, exec, s[10:11]
	s_cbranch_execnz .LBB2_128
.LBB2_129:
	s_or_b64 exec, exec, s[8:9]
	v_mov_b32_e32 v3, 0
	global_load_dwordx2 v[0:1], v3, s[2:3] offset:16
	s_mov_b64 s[8:9], exec
	v_mbcnt_lo_u32_b32 v2, s8, 0
	v_mbcnt_hi_u32_b32 v2, s9, v2
	v_cmp_eq_u32_e32 vcc, 0, v2
	s_and_saveexec_b64 s[10:11], vcc
	s_cbranch_execz .LBB2_131
; %bb.130:
	s_bcnt1_i32_b64 s8, s[8:9]
	v_mov_b32_e32 v2, s8
	buffer_wbl2
	s_waitcnt vmcnt(0)
	global_atomic_add_x2 v[0:1], v[2:3], off offset:8
.LBB2_131:
	s_or_b64 exec, exec, s[10:11]
	s_waitcnt vmcnt(0)
	global_load_dwordx2 v[2:3], v[0:1], off offset:16
	s_waitcnt vmcnt(0)
	v_cmp_eq_u64_e32 vcc, 0, v[2:3]
	s_cbranch_vccnz .LBB2_133
; %bb.132:
	global_load_dword v0, v[0:1], off offset:24
	v_mov_b32_e32 v1, 0
	buffer_wbl2
	s_waitcnt vmcnt(0)
	global_store_dwordx2 v[2:3], v[0:1], off
	v_and_b32_e32 v0, 0xffffff, v0
	v_readfirstlane_b32 m0, v0
	s_sendmsg sendmsg(MSG_INTERRUPT)
.LBB2_133:
	s_or_b64 exec, exec, s[6:7]
	s_branch .LBB2_137
.LBB2_134:                              ;   in Loop: Header=BB2_137 Depth=1
	s_or_b64 exec, exec, s[6:7]
	v_readfirstlane_b32 s6, v0
	s_cmp_eq_u32 s6, 0
	s_cbranch_scc1 .LBB2_136
; %bb.135:                              ;   in Loop: Header=BB2_137 Depth=1
	s_sleep 1
	s_cbranch_execnz .LBB2_137
	s_branch .LBB2_139
.LBB2_136:
	s_branch .LBB2_139
.LBB2_137:                              ; =>This Inner Loop Header: Depth=1
	v_mov_b32_e32 v0, 1
	s_and_saveexec_b64 s[6:7], s[0:1]
	s_cbranch_execz .LBB2_134
; %bb.138:                              ;   in Loop: Header=BB2_137 Depth=1
	global_load_dword v0, v[8:9], off offset:20 glc
	s_waitcnt vmcnt(0)
	buffer_invl2
	buffer_wbinvl1_vol
	v_and_b32_e32 v0, 1, v0
	s_branch .LBB2_134
.LBB2_139:
	global_load_dwordx2 v[2:3], v[6:7], off
	s_and_saveexec_b64 s[6:7], s[0:1]
	s_cbranch_execz .LBB2_142
; %bb.140:
	v_mov_b32_e32 v8, 0
	global_load_dwordx2 v[0:1], v8, s[2:3] offset:40
	global_load_dwordx2 v[10:11], v8, s[2:3] offset:24 glc
	global_load_dwordx2 v[12:13], v8, s[2:3]
	v_mov_b32_e32 v5, s5
	s_mov_b64 s[0:1], 0
	s_waitcnt vmcnt(2)
	v_add_co_u32_e32 v7, vcc, 1, v0
	v_addc_co_u32_e32 v9, vcc, 0, v1, vcc
	v_add_co_u32_e32 v4, vcc, s4, v7
	v_addc_co_u32_e32 v5, vcc, v9, v5, vcc
	v_cmp_eq_u64_e32 vcc, 0, v[4:5]
	v_cndmask_b32_e32 v5, v5, v9, vcc
	v_cndmask_b32_e32 v4, v4, v7, vcc
	v_and_b32_e32 v1, v5, v1
	v_and_b32_e32 v0, v4, v0
	v_mul_lo_u32 v1, v1, 24
	v_mul_hi_u32 v7, v0, 24
	v_mul_lo_u32 v0, v0, 24
	v_add_u32_e32 v1, v7, v1
	s_waitcnt vmcnt(0)
	v_add_co_u32_e32 v0, vcc, v12, v0
	v_addc_co_u32_e32 v1, vcc, v13, v1, vcc
	v_mov_b32_e32 v6, v10
	global_store_dwordx2 v[0:1], v[10:11], off
	v_mov_b32_e32 v7, v11
	buffer_wbl2
	s_waitcnt vmcnt(0)
	global_atomic_cmpswap_x2 v[6:7], v8, v[4:7], s[2:3] offset:24 glc
	s_waitcnt vmcnt(0)
	v_cmp_ne_u64_e32 vcc, v[6:7], v[10:11]
	s_and_b64 exec, exec, vcc
	s_cbranch_execz .LBB2_142
.LBB2_141:                              ; =>This Inner Loop Header: Depth=1
	s_sleep 1
	global_store_dwordx2 v[0:1], v[6:7], off
	buffer_wbl2
	s_waitcnt vmcnt(0)
	global_atomic_cmpswap_x2 v[10:11], v8, v[4:7], s[2:3] offset:24 glc
	s_waitcnt vmcnt(0)
	v_cmp_eq_u64_e32 vcc, v[10:11], v[6:7]
	s_or_b64 s[0:1], vcc, s[0:1]
	v_pk_mov_b32 v[6:7], v[10:11], v[10:11] op_sel:[0,1]
	s_andn2_b64 exec, exec, s[0:1]
	s_cbranch_execnz .LBB2_141
.LBB2_142:
	s_or_b64 exec, exec, s[6:7]
.LBB2_143:
	v_readfirstlane_b32 s0, v36
	v_cmp_eq_u32_e64 s[0:1], s0, v36
	s_waitcnt vmcnt(0)
	v_pk_mov_b32 v[0:1], 0, 0
	s_and_saveexec_b64 s[4:5], s[0:1]
	s_cbranch_execz .LBB2_149
; %bb.144:
	v_mov_b32_e32 v4, 0
	global_load_dwordx2 v[8:9], v4, s[2:3] offset:24 glc
	s_waitcnt vmcnt(0)
	buffer_invl2
	buffer_wbinvl1_vol
	global_load_dwordx2 v[0:1], v4, s[2:3] offset:40
	global_load_dwordx2 v[6:7], v4, s[2:3]
	s_waitcnt vmcnt(1)
	v_and_b32_e32 v0, v0, v8
	v_and_b32_e32 v1, v1, v9
	v_mul_lo_u32 v1, v1, 24
	v_mul_hi_u32 v5, v0, 24
	v_mul_lo_u32 v0, v0, 24
	v_add_u32_e32 v1, v5, v1
	s_waitcnt vmcnt(0)
	v_add_co_u32_e32 v0, vcc, v6, v0
	v_addc_co_u32_e32 v1, vcc, v7, v1, vcc
	global_load_dwordx2 v[6:7], v[0:1], off glc
	s_waitcnt vmcnt(0)
	global_atomic_cmpswap_x2 v[0:1], v4, v[6:9], s[2:3] offset:24 glc
	s_waitcnt vmcnt(0)
	buffer_invl2
	buffer_wbinvl1_vol
	v_cmp_ne_u64_e32 vcc, v[0:1], v[8:9]
	s_and_saveexec_b64 s[6:7], vcc
	s_cbranch_execz .LBB2_148
; %bb.145:
	s_mov_b64 s[8:9], 0
.LBB2_146:                              ; =>This Inner Loop Header: Depth=1
	s_sleep 1
	global_load_dwordx2 v[6:7], v4, s[2:3] offset:40
	global_load_dwordx2 v[10:11], v4, s[2:3]
	v_pk_mov_b32 v[8:9], v[0:1], v[0:1] op_sel:[0,1]
	s_waitcnt vmcnt(1)
	v_and_b32_e32 v0, v6, v8
	s_waitcnt vmcnt(0)
	v_mad_u64_u32 v[0:1], s[10:11], v0, 24, v[10:11]
	v_and_b32_e32 v5, v7, v9
	v_mov_b32_e32 v6, v1
	v_mad_u64_u32 v[6:7], s[10:11], v5, 24, v[6:7]
	v_mov_b32_e32 v1, v6
	global_load_dwordx2 v[6:7], v[0:1], off glc
	s_waitcnt vmcnt(0)
	global_atomic_cmpswap_x2 v[0:1], v4, v[6:9], s[2:3] offset:24 glc
	s_waitcnt vmcnt(0)
	buffer_invl2
	buffer_wbinvl1_vol
	v_cmp_eq_u64_e32 vcc, v[0:1], v[8:9]
	s_or_b64 s[8:9], vcc, s[8:9]
	s_andn2_b64 exec, exec, s[8:9]
	s_cbranch_execnz .LBB2_146
; %bb.147:
	s_or_b64 exec, exec, s[8:9]
.LBB2_148:
	s_or_b64 exec, exec, s[6:7]
.LBB2_149:
	s_or_b64 exec, exec, s[4:5]
	v_mov_b32_e32 v5, 0
	global_load_dwordx2 v[10:11], v5, s[2:3] offset:40
	global_load_dwordx4 v[6:9], v5, s[2:3]
	v_readfirstlane_b32 s4, v0
	v_readfirstlane_b32 s5, v1
	s_mov_b64 s[6:7], exec
	s_waitcnt vmcnt(1)
	v_readfirstlane_b32 s8, v10
	v_readfirstlane_b32 s9, v11
	s_and_b64 s[8:9], s[4:5], s[8:9]
	s_mul_i32 s10, s9, 24
	s_mul_hi_u32 s11, s8, 24
	s_mul_i32 s12, s8, 24
	s_add_i32 s10, s11, s10
	v_mov_b32_e32 v0, s10
	s_waitcnt vmcnt(0)
	v_add_co_u32_e32 v10, vcc, s12, v6
	v_addc_co_u32_e32 v11, vcc, v7, v0, vcc
	s_and_saveexec_b64 s[10:11], s[0:1]
	s_cbranch_execz .LBB2_151
; %bb.150:
	v_pk_mov_b32 v[12:13], s[6:7], s[6:7] op_sel:[0,1]
	v_mov_b32_e32 v14, 2
	v_mov_b32_e32 v15, 1
	global_store_dwordx4 v[10:11], v[12:15], off offset:8
.LBB2_151:
	s_or_b64 exec, exec, s[10:11]
	s_lshl_b64 s[6:7], s[8:9], 12
	v_mov_b32_e32 v1, s7
	v_add_co_u32_e32 v0, vcc, s6, v8
	v_addc_co_u32_e32 v1, vcc, v9, v1, vcc
	s_mov_b32 s8, 0
	s_movk_i32 s6, 0xff1f
	v_and_or_b32 v2, v2, s6, 32
	v_add_co_u32_e32 v8, vcc, v0, v31
	v_mov_b32_e32 v4, v28
	v_readfirstlane_b32 s6, v0
	v_readfirstlane_b32 s7, v1
	s_mov_b32 s9, s8
	v_addc_co_u32_e32 v9, vcc, 0, v1, vcc
	s_mov_b32 s10, s8
	s_mov_b32 s11, s8
	s_nop 0
	global_store_dwordx4 v31, v[2:5], s[6:7]
	v_pk_mov_b32 v[0:1], s[8:9], s[8:9] op_sel:[0,1]
	v_pk_mov_b32 v[2:3], s[10:11], s[10:11] op_sel:[0,1]
	global_store_dwordx4 v31, v[0:3], s[6:7] offset:16
	global_store_dwordx4 v31, v[0:3], s[6:7] offset:32
	;; [unrolled: 1-line block ×3, first 2 shown]
	s_and_saveexec_b64 s[6:7], s[0:1]
	s_cbranch_execz .LBB2_159
; %bb.152:
	v_mov_b32_e32 v12, 0
	global_load_dwordx2 v[16:17], v12, s[2:3] offset:32 glc
	global_load_dwordx2 v[0:1], v12, s[2:3] offset:40
	v_mov_b32_e32 v14, s4
	v_mov_b32_e32 v15, s5
	s_waitcnt vmcnt(0)
	v_readfirstlane_b32 s8, v0
	v_readfirstlane_b32 s9, v1
	s_and_b64 s[8:9], s[8:9], s[4:5]
	s_mul_i32 s9, s9, 24
	s_mul_hi_u32 s10, s8, 24
	s_mul_i32 s8, s8, 24
	s_add_i32 s9, s10, s9
	v_mov_b32_e32 v0, s9
	v_add_co_u32_e32 v4, vcc, s8, v6
	v_addc_co_u32_e32 v5, vcc, v7, v0, vcc
	global_store_dwordx2 v[4:5], v[16:17], off
	buffer_wbl2
	s_waitcnt vmcnt(0)
	global_atomic_cmpswap_x2 v[2:3], v12, v[14:17], s[2:3] offset:32 glc
	s_waitcnt vmcnt(0)
	v_cmp_ne_u64_e32 vcc, v[2:3], v[16:17]
	s_and_saveexec_b64 s[8:9], vcc
	s_cbranch_execz .LBB2_155
; %bb.153:
	s_mov_b64 s[10:11], 0
.LBB2_154:                              ; =>This Inner Loop Header: Depth=1
	s_sleep 1
	global_store_dwordx2 v[4:5], v[2:3], off
	v_mov_b32_e32 v0, s4
	v_mov_b32_e32 v1, s5
	buffer_wbl2
	s_waitcnt vmcnt(0)
	global_atomic_cmpswap_x2 v[0:1], v12, v[0:3], s[2:3] offset:32 glc
	s_waitcnt vmcnt(0)
	v_cmp_eq_u64_e32 vcc, v[0:1], v[2:3]
	s_or_b64 s[10:11], vcc, s[10:11]
	v_pk_mov_b32 v[2:3], v[0:1], v[0:1] op_sel:[0,1]
	s_andn2_b64 exec, exec, s[10:11]
	s_cbranch_execnz .LBB2_154
.LBB2_155:
	s_or_b64 exec, exec, s[8:9]
	v_mov_b32_e32 v3, 0
	global_load_dwordx2 v[0:1], v3, s[2:3] offset:16
	s_mov_b64 s[8:9], exec
	v_mbcnt_lo_u32_b32 v2, s8, 0
	v_mbcnt_hi_u32_b32 v2, s9, v2
	v_cmp_eq_u32_e32 vcc, 0, v2
	s_and_saveexec_b64 s[10:11], vcc
	s_cbranch_execz .LBB2_157
; %bb.156:
	s_bcnt1_i32_b64 s8, s[8:9]
	v_mov_b32_e32 v2, s8
	buffer_wbl2
	s_waitcnt vmcnt(0)
	global_atomic_add_x2 v[0:1], v[2:3], off offset:8
.LBB2_157:
	s_or_b64 exec, exec, s[10:11]
	s_waitcnt vmcnt(0)
	global_load_dwordx2 v[2:3], v[0:1], off offset:16
	s_waitcnt vmcnt(0)
	v_cmp_eq_u64_e32 vcc, 0, v[2:3]
	s_cbranch_vccnz .LBB2_159
; %bb.158:
	global_load_dword v0, v[0:1], off offset:24
	v_mov_b32_e32 v1, 0
	buffer_wbl2
	s_waitcnt vmcnt(0)
	global_store_dwordx2 v[2:3], v[0:1], off
	v_and_b32_e32 v0, 0xffffff, v0
	v_readfirstlane_b32 m0, v0
	s_sendmsg sendmsg(MSG_INTERRUPT)
.LBB2_159:
	s_or_b64 exec, exec, s[6:7]
	s_branch .LBB2_163
.LBB2_160:                              ;   in Loop: Header=BB2_163 Depth=1
	s_or_b64 exec, exec, s[6:7]
	v_readfirstlane_b32 s6, v0
	s_cmp_eq_u32 s6, 0
	s_cbranch_scc1 .LBB2_162
; %bb.161:                              ;   in Loop: Header=BB2_163 Depth=1
	s_sleep 1
	s_cbranch_execnz .LBB2_163
	s_branch .LBB2_165
.LBB2_162:
	s_branch .LBB2_165
.LBB2_163:                              ; =>This Inner Loop Header: Depth=1
	v_mov_b32_e32 v0, 1
	s_and_saveexec_b64 s[6:7], s[0:1]
	s_cbranch_execz .LBB2_160
; %bb.164:                              ;   in Loop: Header=BB2_163 Depth=1
	global_load_dword v0, v[10:11], off offset:20 glc
	s_waitcnt vmcnt(0)
	buffer_invl2
	buffer_wbinvl1_vol
	v_and_b32_e32 v0, 1, v0
	s_branch .LBB2_160
.LBB2_165:
	global_load_dwordx2 v[0:1], v[8:9], off
	s_and_saveexec_b64 s[6:7], s[0:1]
	s_cbranch_execz .LBB2_168
; %bb.166:
	v_mov_b32_e32 v8, 0
	global_load_dwordx2 v[6:7], v8, s[2:3] offset:40
	global_load_dwordx2 v[10:11], v8, s[2:3] offset:24 glc
	global_load_dwordx2 v[12:13], v8, s[2:3]
	v_mov_b32_e32 v3, s5
	s_mov_b64 s[0:1], 0
	s_waitcnt vmcnt(2)
	v_add_co_u32_e32 v5, vcc, 1, v6
	v_addc_co_u32_e32 v9, vcc, 0, v7, vcc
	v_add_co_u32_e32 v2, vcc, s4, v5
	v_addc_co_u32_e32 v3, vcc, v9, v3, vcc
	v_cmp_eq_u64_e32 vcc, 0, v[2:3]
	v_cndmask_b32_e32 v3, v3, v9, vcc
	v_cndmask_b32_e32 v2, v2, v5, vcc
	v_and_b32_e32 v5, v3, v7
	v_and_b32_e32 v6, v2, v6
	v_mul_lo_u32 v5, v5, 24
	v_mul_hi_u32 v7, v6, 24
	v_mul_lo_u32 v6, v6, 24
	v_add_u32_e32 v5, v7, v5
	s_waitcnt vmcnt(0)
	v_add_co_u32_e32 v6, vcc, v12, v6
	v_addc_co_u32_e32 v7, vcc, v13, v5, vcc
	v_mov_b32_e32 v4, v10
	global_store_dwordx2 v[6:7], v[10:11], off
	v_mov_b32_e32 v5, v11
	buffer_wbl2
	s_waitcnt vmcnt(0)
	global_atomic_cmpswap_x2 v[4:5], v8, v[2:5], s[2:3] offset:24 glc
	s_waitcnt vmcnt(0)
	v_cmp_ne_u64_e32 vcc, v[4:5], v[10:11]
	s_and_b64 exec, exec, vcc
	s_cbranch_execz .LBB2_168
.LBB2_167:                              ; =>This Inner Loop Header: Depth=1
	s_sleep 1
	global_store_dwordx2 v[6:7], v[4:5], off
	buffer_wbl2
	s_waitcnt vmcnt(0)
	global_atomic_cmpswap_x2 v[10:11], v8, v[2:5], s[2:3] offset:24 glc
	s_waitcnt vmcnt(0)
	v_cmp_eq_u64_e32 vcc, v[10:11], v[4:5]
	s_or_b64 s[0:1], vcc, s[0:1]
	v_pk_mov_b32 v[4:5], v[10:11], v[10:11] op_sel:[0,1]
	s_andn2_b64 exec, exec, s[0:1]
	s_cbranch_execnz .LBB2_167
.LBB2_168:
	s_or_b64 exec, exec, s[6:7]
	v_readfirstlane_b32 s0, v36
	v_cmp_eq_u32_e64 s[0:1], s0, v36
	v_pk_mov_b32 v[2:3], 0, 0
	s_and_saveexec_b64 s[4:5], s[0:1]
	s_cbranch_execz .LBB2_174
; %bb.169:
	v_mov_b32_e32 v4, 0
	global_load_dwordx2 v[8:9], v4, s[2:3] offset:24 glc
	s_waitcnt vmcnt(0)
	buffer_invl2
	buffer_wbinvl1_vol
	global_load_dwordx2 v[2:3], v4, s[2:3] offset:40
	global_load_dwordx2 v[6:7], v4, s[2:3]
	s_waitcnt vmcnt(1)
	v_and_b32_e32 v2, v2, v8
	v_and_b32_e32 v3, v3, v9
	v_mul_lo_u32 v3, v3, 24
	v_mul_hi_u32 v5, v2, 24
	v_mul_lo_u32 v2, v2, 24
	v_add_u32_e32 v3, v5, v3
	s_waitcnt vmcnt(0)
	v_add_co_u32_e32 v2, vcc, v6, v2
	v_addc_co_u32_e32 v3, vcc, v7, v3, vcc
	global_load_dwordx2 v[6:7], v[2:3], off glc
	s_waitcnt vmcnt(0)
	global_atomic_cmpswap_x2 v[2:3], v4, v[6:9], s[2:3] offset:24 glc
	s_waitcnt vmcnt(0)
	buffer_invl2
	buffer_wbinvl1_vol
	v_cmp_ne_u64_e32 vcc, v[2:3], v[8:9]
	s_and_saveexec_b64 s[6:7], vcc
	s_cbranch_execz .LBB2_173
; %bb.170:
	s_mov_b64 s[8:9], 0
.LBB2_171:                              ; =>This Inner Loop Header: Depth=1
	s_sleep 1
	global_load_dwordx2 v[6:7], v4, s[2:3] offset:40
	global_load_dwordx2 v[10:11], v4, s[2:3]
	v_pk_mov_b32 v[8:9], v[2:3], v[2:3] op_sel:[0,1]
	s_waitcnt vmcnt(1)
	v_and_b32_e32 v2, v6, v8
	s_waitcnt vmcnt(0)
	v_mad_u64_u32 v[2:3], s[10:11], v2, 24, v[10:11]
	v_and_b32_e32 v5, v7, v9
	v_mov_b32_e32 v6, v3
	v_mad_u64_u32 v[6:7], s[10:11], v5, 24, v[6:7]
	v_mov_b32_e32 v3, v6
	global_load_dwordx2 v[6:7], v[2:3], off glc
	s_waitcnt vmcnt(0)
	global_atomic_cmpswap_x2 v[2:3], v4, v[6:9], s[2:3] offset:24 glc
	s_waitcnt vmcnt(0)
	buffer_invl2
	buffer_wbinvl1_vol
	v_cmp_eq_u64_e32 vcc, v[2:3], v[8:9]
	s_or_b64 s[8:9], vcc, s[8:9]
	s_andn2_b64 exec, exec, s[8:9]
	s_cbranch_execnz .LBB2_171
; %bb.172:
	s_or_b64 exec, exec, s[8:9]
.LBB2_173:
	s_or_b64 exec, exec, s[6:7]
.LBB2_174:
	s_or_b64 exec, exec, s[4:5]
	v_mov_b32_e32 v10, 0
	global_load_dwordx2 v[8:9], v10, s[2:3] offset:40
	global_load_dwordx4 v[4:7], v10, s[2:3]
	v_readfirstlane_b32 s4, v2
	v_readfirstlane_b32 s5, v3
	s_mov_b64 s[6:7], exec
	s_waitcnt vmcnt(1)
	v_readfirstlane_b32 s8, v8
	v_readfirstlane_b32 s9, v9
	s_and_b64 s[8:9], s[4:5], s[8:9]
	s_mul_i32 s10, s9, 24
	s_mul_hi_u32 s11, s8, 24
	s_mul_i32 s12, s8, 24
	s_add_i32 s10, s11, s10
	v_mov_b32_e32 v2, s10
	s_waitcnt vmcnt(0)
	v_add_co_u32_e32 v8, vcc, s12, v4
	v_addc_co_u32_e32 v9, vcc, v5, v2, vcc
	s_and_saveexec_b64 s[10:11], s[0:1]
	s_cbranch_execz .LBB2_176
; %bb.175:
	v_pk_mov_b32 v[10:11], s[6:7], s[6:7] op_sel:[0,1]
	v_mov_b32_e32 v12, 2
	v_mov_b32_e32 v13, 1
	global_store_dwordx4 v[8:9], v[10:13], off offset:8
.LBB2_176:
	s_or_b64 exec, exec, s[10:11]
	s_lshl_b64 s[6:7], s[8:9], 12
	v_mov_b32_e32 v2, s7
	v_add_co_u32_e32 v10, vcc, s6, v6
	v_addc_co_u32_e32 v11, vcc, v7, v2, vcc
	s_movk_i32 s6, 0xff1f
	s_mov_b32 s8, 0
	v_and_or_b32 v0, v0, s6, 32
	v_cvt_f64_f32_e32 v[2:3], v38
	v_readfirstlane_b32 s6, v10
	v_readfirstlane_b32 s7, v11
	s_mov_b32 s9, s8
	v_add_co_u32_e32 v6, vcc, v10, v31
	s_mov_b32 s10, s8
	s_mov_b32 s11, s8
	s_nop 0
	global_store_dwordx4 v31, v[0:3], s[6:7]
	v_addc_co_u32_e32 v7, vcc, 0, v11, vcc
	v_pk_mov_b32 v[0:1], s[8:9], s[8:9] op_sel:[0,1]
	v_pk_mov_b32 v[2:3], s[10:11], s[10:11] op_sel:[0,1]
	global_store_dwordx4 v31, v[0:3], s[6:7] offset:16
	global_store_dwordx4 v31, v[0:3], s[6:7] offset:32
	;; [unrolled: 1-line block ×3, first 2 shown]
	s_and_saveexec_b64 s[6:7], s[0:1]
	s_cbranch_execz .LBB2_184
; %bb.177:
	v_mov_b32_e32 v10, 0
	global_load_dwordx2 v[14:15], v10, s[2:3] offset:32 glc
	global_load_dwordx2 v[0:1], v10, s[2:3] offset:40
	v_mov_b32_e32 v12, s4
	v_mov_b32_e32 v13, s5
	s_waitcnt vmcnt(0)
	v_readfirstlane_b32 s8, v0
	v_readfirstlane_b32 s9, v1
	s_and_b64 s[8:9], s[8:9], s[4:5]
	s_mul_i32 s9, s9, 24
	s_mul_hi_u32 s10, s8, 24
	s_mul_i32 s8, s8, 24
	s_add_i32 s9, s10, s9
	v_mov_b32_e32 v0, s9
	v_add_co_u32_e32 v4, vcc, s8, v4
	v_addc_co_u32_e32 v5, vcc, v5, v0, vcc
	global_store_dwordx2 v[4:5], v[14:15], off
	buffer_wbl2
	s_waitcnt vmcnt(0)
	global_atomic_cmpswap_x2 v[2:3], v10, v[12:15], s[2:3] offset:32 glc
	s_waitcnt vmcnt(0)
	v_cmp_ne_u64_e32 vcc, v[2:3], v[14:15]
	s_and_saveexec_b64 s[8:9], vcc
	s_cbranch_execz .LBB2_180
; %bb.178:
	s_mov_b64 s[10:11], 0
.LBB2_179:                              ; =>This Inner Loop Header: Depth=1
	s_sleep 1
	global_store_dwordx2 v[4:5], v[2:3], off
	v_mov_b32_e32 v0, s4
	v_mov_b32_e32 v1, s5
	buffer_wbl2
	s_waitcnt vmcnt(0)
	global_atomic_cmpswap_x2 v[0:1], v10, v[0:3], s[2:3] offset:32 glc
	s_waitcnt vmcnt(0)
	v_cmp_eq_u64_e32 vcc, v[0:1], v[2:3]
	s_or_b64 s[10:11], vcc, s[10:11]
	v_pk_mov_b32 v[2:3], v[0:1], v[0:1] op_sel:[0,1]
	s_andn2_b64 exec, exec, s[10:11]
	s_cbranch_execnz .LBB2_179
.LBB2_180:
	s_or_b64 exec, exec, s[8:9]
	v_mov_b32_e32 v3, 0
	global_load_dwordx2 v[0:1], v3, s[2:3] offset:16
	s_mov_b64 s[8:9], exec
	v_mbcnt_lo_u32_b32 v2, s8, 0
	v_mbcnt_hi_u32_b32 v2, s9, v2
	v_cmp_eq_u32_e32 vcc, 0, v2
	s_and_saveexec_b64 s[10:11], vcc
	s_cbranch_execz .LBB2_182
; %bb.181:
	s_bcnt1_i32_b64 s8, s[8:9]
	v_mov_b32_e32 v2, s8
	buffer_wbl2
	s_waitcnt vmcnt(0)
	global_atomic_add_x2 v[0:1], v[2:3], off offset:8
.LBB2_182:
	s_or_b64 exec, exec, s[10:11]
	s_waitcnt vmcnt(0)
	global_load_dwordx2 v[2:3], v[0:1], off offset:16
	s_waitcnt vmcnt(0)
	v_cmp_eq_u64_e32 vcc, 0, v[2:3]
	s_cbranch_vccnz .LBB2_184
; %bb.183:
	global_load_dword v0, v[0:1], off offset:24
	v_mov_b32_e32 v1, 0
	buffer_wbl2
	s_waitcnt vmcnt(0)
	global_store_dwordx2 v[2:3], v[0:1], off
	v_and_b32_e32 v0, 0xffffff, v0
	v_readfirstlane_b32 m0, v0
	s_sendmsg sendmsg(MSG_INTERRUPT)
.LBB2_184:
	s_or_b64 exec, exec, s[6:7]
	s_branch .LBB2_188
.LBB2_185:                              ;   in Loop: Header=BB2_188 Depth=1
	s_or_b64 exec, exec, s[6:7]
	v_readfirstlane_b32 s6, v0
	s_cmp_eq_u32 s6, 0
	s_cbranch_scc1 .LBB2_187
; %bb.186:                              ;   in Loop: Header=BB2_188 Depth=1
	s_sleep 1
	s_cbranch_execnz .LBB2_188
	s_branch .LBB2_190
.LBB2_187:
	s_branch .LBB2_190
.LBB2_188:                              ; =>This Inner Loop Header: Depth=1
	v_mov_b32_e32 v0, 1
	s_and_saveexec_b64 s[6:7], s[0:1]
	s_cbranch_execz .LBB2_185
; %bb.189:                              ;   in Loop: Header=BB2_188 Depth=1
	global_load_dword v0, v[8:9], off offset:20 glc
	s_waitcnt vmcnt(0)
	buffer_invl2
	buffer_wbinvl1_vol
	v_and_b32_e32 v0, 1, v0
	s_branch .LBB2_185
.LBB2_190:
	global_load_dwordx2 v[0:1], v[6:7], off
	s_and_saveexec_b64 s[6:7], s[0:1]
	s_cbranch_execz .LBB2_193
; %bb.191:
	v_mov_b32_e32 v8, 0
	global_load_dwordx2 v[6:7], v8, s[2:3] offset:40
	global_load_dwordx2 v[10:11], v8, s[2:3] offset:24 glc
	global_load_dwordx2 v[12:13], v8, s[2:3]
	v_mov_b32_e32 v3, s5
	s_mov_b64 s[0:1], 0
	s_waitcnt vmcnt(2)
	v_add_co_u32_e32 v5, vcc, 1, v6
	v_addc_co_u32_e32 v9, vcc, 0, v7, vcc
	v_add_co_u32_e32 v2, vcc, s4, v5
	v_addc_co_u32_e32 v3, vcc, v9, v3, vcc
	v_cmp_eq_u64_e32 vcc, 0, v[2:3]
	v_cndmask_b32_e32 v3, v3, v9, vcc
	v_cndmask_b32_e32 v2, v2, v5, vcc
	v_and_b32_e32 v5, v3, v7
	v_and_b32_e32 v6, v2, v6
	v_mul_lo_u32 v5, v5, 24
	v_mul_hi_u32 v7, v6, 24
	v_mul_lo_u32 v6, v6, 24
	v_add_u32_e32 v5, v7, v5
	s_waitcnt vmcnt(0)
	v_add_co_u32_e32 v6, vcc, v12, v6
	v_addc_co_u32_e32 v7, vcc, v13, v5, vcc
	v_mov_b32_e32 v4, v10
	global_store_dwordx2 v[6:7], v[10:11], off
	v_mov_b32_e32 v5, v11
	buffer_wbl2
	s_waitcnt vmcnt(0)
	global_atomic_cmpswap_x2 v[4:5], v8, v[2:5], s[2:3] offset:24 glc
	s_waitcnt vmcnt(0)
	v_cmp_ne_u64_e32 vcc, v[4:5], v[10:11]
	s_and_b64 exec, exec, vcc
	s_cbranch_execz .LBB2_193
.LBB2_192:                              ; =>This Inner Loop Header: Depth=1
	s_sleep 1
	global_store_dwordx2 v[6:7], v[4:5], off
	buffer_wbl2
	s_waitcnt vmcnt(0)
	global_atomic_cmpswap_x2 v[10:11], v8, v[2:5], s[2:3] offset:24 glc
	s_waitcnt vmcnt(0)
	v_cmp_eq_u64_e32 vcc, v[10:11], v[4:5]
	s_or_b64 s[0:1], vcc, s[0:1]
	v_pk_mov_b32 v[4:5], v[10:11], v[10:11] op_sel:[0,1]
	s_andn2_b64 exec, exec, s[0:1]
	s_cbranch_execnz .LBB2_192
.LBB2_193:
	s_or_b64 exec, exec, s[6:7]
	v_readfirstlane_b32 s0, v36
	v_cmp_eq_u32_e64 s[0:1], s0, v36
	v_pk_mov_b32 v[2:3], 0, 0
	s_and_saveexec_b64 s[4:5], s[0:1]
	s_cbranch_execz .LBB2_199
; %bb.194:
	v_mov_b32_e32 v4, 0
	global_load_dwordx2 v[8:9], v4, s[2:3] offset:24 glc
	s_waitcnt vmcnt(0)
	buffer_invl2
	buffer_wbinvl1_vol
	global_load_dwordx2 v[2:3], v4, s[2:3] offset:40
	global_load_dwordx2 v[6:7], v4, s[2:3]
	s_waitcnt vmcnt(1)
	v_and_b32_e32 v2, v2, v8
	v_and_b32_e32 v3, v3, v9
	v_mul_lo_u32 v3, v3, 24
	v_mul_hi_u32 v5, v2, 24
	v_mul_lo_u32 v2, v2, 24
	v_add_u32_e32 v3, v5, v3
	s_waitcnt vmcnt(0)
	v_add_co_u32_e32 v2, vcc, v6, v2
	v_addc_co_u32_e32 v3, vcc, v7, v3, vcc
	global_load_dwordx2 v[6:7], v[2:3], off glc
	s_waitcnt vmcnt(0)
	global_atomic_cmpswap_x2 v[2:3], v4, v[6:9], s[2:3] offset:24 glc
	s_waitcnt vmcnt(0)
	buffer_invl2
	buffer_wbinvl1_vol
	v_cmp_ne_u64_e32 vcc, v[2:3], v[8:9]
	s_and_saveexec_b64 s[6:7], vcc
	s_cbranch_execz .LBB2_198
; %bb.195:
	s_mov_b64 s[8:9], 0
.LBB2_196:                              ; =>This Inner Loop Header: Depth=1
	s_sleep 1
	global_load_dwordx2 v[6:7], v4, s[2:3] offset:40
	global_load_dwordx2 v[10:11], v4, s[2:3]
	v_pk_mov_b32 v[8:9], v[2:3], v[2:3] op_sel:[0,1]
	s_waitcnt vmcnt(1)
	v_and_b32_e32 v2, v6, v8
	s_waitcnt vmcnt(0)
	v_mad_u64_u32 v[2:3], s[10:11], v2, 24, v[10:11]
	v_and_b32_e32 v5, v7, v9
	v_mov_b32_e32 v6, v3
	v_mad_u64_u32 v[6:7], s[10:11], v5, 24, v[6:7]
	v_mov_b32_e32 v3, v6
	global_load_dwordx2 v[6:7], v[2:3], off glc
	s_waitcnt vmcnt(0)
	global_atomic_cmpswap_x2 v[2:3], v4, v[6:9], s[2:3] offset:24 glc
	s_waitcnt vmcnt(0)
	buffer_invl2
	buffer_wbinvl1_vol
	v_cmp_eq_u64_e32 vcc, v[2:3], v[8:9]
	s_or_b64 s[8:9], vcc, s[8:9]
	s_andn2_b64 exec, exec, s[8:9]
	s_cbranch_execnz .LBB2_196
; %bb.197:
	s_or_b64 exec, exec, s[8:9]
.LBB2_198:
	s_or_b64 exec, exec, s[6:7]
.LBB2_199:
	s_or_b64 exec, exec, s[4:5]
	v_mov_b32_e32 v10, 0
	global_load_dwordx2 v[8:9], v10, s[2:3] offset:40
	global_load_dwordx4 v[4:7], v10, s[2:3]
	v_readfirstlane_b32 s4, v2
	v_readfirstlane_b32 s5, v3
	s_mov_b64 s[6:7], exec
	s_waitcnt vmcnt(1)
	v_readfirstlane_b32 s8, v8
	v_readfirstlane_b32 s9, v9
	s_and_b64 s[8:9], s[4:5], s[8:9]
	s_mul_i32 s10, s9, 24
	s_mul_hi_u32 s11, s8, 24
	s_mul_i32 s12, s8, 24
	s_add_i32 s10, s11, s10
	v_mov_b32_e32 v2, s10
	s_waitcnt vmcnt(0)
	v_add_co_u32_e32 v8, vcc, s12, v4
	v_addc_co_u32_e32 v9, vcc, v5, v2, vcc
	s_and_saveexec_b64 s[10:11], s[0:1]
	s_cbranch_execz .LBB2_201
; %bb.200:
	v_pk_mov_b32 v[10:11], s[6:7], s[6:7] op_sel:[0,1]
	v_mov_b32_e32 v12, 2
	v_mov_b32_e32 v13, 1
	global_store_dwordx4 v[8:9], v[10:13], off offset:8
.LBB2_201:
	s_or_b64 exec, exec, s[10:11]
	s_lshl_b64 s[6:7], s[8:9], 12
	v_mov_b32_e32 v2, s7
	v_add_co_u32_e32 v10, vcc, s6, v6
	v_addc_co_u32_e32 v11, vcc, v7, v2, vcc
	s_movk_i32 s6, 0xff1f
	s_mov_b32 s8, 0
	v_and_or_b32 v0, v0, s6, 32
	v_cvt_f64_f32_e32 v[2:3], v37
	v_readfirstlane_b32 s6, v10
	v_readfirstlane_b32 s7, v11
	s_mov_b32 s9, s8
	v_add_co_u32_e32 v6, vcc, v10, v31
	s_mov_b32 s10, s8
	s_mov_b32 s11, s8
	s_nop 0
	global_store_dwordx4 v31, v[0:3], s[6:7]
	v_addc_co_u32_e32 v7, vcc, 0, v11, vcc
	v_pk_mov_b32 v[0:1], s[8:9], s[8:9] op_sel:[0,1]
	v_pk_mov_b32 v[2:3], s[10:11], s[10:11] op_sel:[0,1]
	global_store_dwordx4 v31, v[0:3], s[6:7] offset:16
	global_store_dwordx4 v31, v[0:3], s[6:7] offset:32
	;; [unrolled: 1-line block ×3, first 2 shown]
	s_and_saveexec_b64 s[6:7], s[0:1]
	s_cbranch_execz .LBB2_209
; %bb.202:
	v_mov_b32_e32 v10, 0
	global_load_dwordx2 v[14:15], v10, s[2:3] offset:32 glc
	global_load_dwordx2 v[0:1], v10, s[2:3] offset:40
	v_mov_b32_e32 v12, s4
	v_mov_b32_e32 v13, s5
	s_waitcnt vmcnt(0)
	v_readfirstlane_b32 s8, v0
	v_readfirstlane_b32 s9, v1
	s_and_b64 s[8:9], s[8:9], s[4:5]
	s_mul_i32 s9, s9, 24
	s_mul_hi_u32 s10, s8, 24
	s_mul_i32 s8, s8, 24
	s_add_i32 s9, s10, s9
	v_mov_b32_e32 v0, s9
	v_add_co_u32_e32 v4, vcc, s8, v4
	v_addc_co_u32_e32 v5, vcc, v5, v0, vcc
	global_store_dwordx2 v[4:5], v[14:15], off
	buffer_wbl2
	s_waitcnt vmcnt(0)
	global_atomic_cmpswap_x2 v[2:3], v10, v[12:15], s[2:3] offset:32 glc
	s_waitcnt vmcnt(0)
	v_cmp_ne_u64_e32 vcc, v[2:3], v[14:15]
	s_and_saveexec_b64 s[8:9], vcc
	s_cbranch_execz .LBB2_205
; %bb.203:
	s_mov_b64 s[10:11], 0
.LBB2_204:                              ; =>This Inner Loop Header: Depth=1
	s_sleep 1
	global_store_dwordx2 v[4:5], v[2:3], off
	v_mov_b32_e32 v0, s4
	v_mov_b32_e32 v1, s5
	buffer_wbl2
	s_waitcnt vmcnt(0)
	global_atomic_cmpswap_x2 v[0:1], v10, v[0:3], s[2:3] offset:32 glc
	s_waitcnt vmcnt(0)
	v_cmp_eq_u64_e32 vcc, v[0:1], v[2:3]
	s_or_b64 s[10:11], vcc, s[10:11]
	v_pk_mov_b32 v[2:3], v[0:1], v[0:1] op_sel:[0,1]
	s_andn2_b64 exec, exec, s[10:11]
	s_cbranch_execnz .LBB2_204
.LBB2_205:
	s_or_b64 exec, exec, s[8:9]
	v_mov_b32_e32 v3, 0
	global_load_dwordx2 v[0:1], v3, s[2:3] offset:16
	s_mov_b64 s[8:9], exec
	v_mbcnt_lo_u32_b32 v2, s8, 0
	v_mbcnt_hi_u32_b32 v2, s9, v2
	v_cmp_eq_u32_e32 vcc, 0, v2
	s_and_saveexec_b64 s[10:11], vcc
	s_cbranch_execz .LBB2_207
; %bb.206:
	s_bcnt1_i32_b64 s8, s[8:9]
	v_mov_b32_e32 v2, s8
	buffer_wbl2
	s_waitcnt vmcnt(0)
	global_atomic_add_x2 v[0:1], v[2:3], off offset:8
.LBB2_207:
	s_or_b64 exec, exec, s[10:11]
	s_waitcnt vmcnt(0)
	global_load_dwordx2 v[2:3], v[0:1], off offset:16
	s_waitcnt vmcnt(0)
	v_cmp_eq_u64_e32 vcc, 0, v[2:3]
	s_cbranch_vccnz .LBB2_209
; %bb.208:
	global_load_dword v0, v[0:1], off offset:24
	v_mov_b32_e32 v1, 0
	buffer_wbl2
	s_waitcnt vmcnt(0)
	global_store_dwordx2 v[2:3], v[0:1], off
	v_and_b32_e32 v0, 0xffffff, v0
	v_readfirstlane_b32 m0, v0
	s_sendmsg sendmsg(MSG_INTERRUPT)
.LBB2_209:
	s_or_b64 exec, exec, s[6:7]
	s_branch .LBB2_213
.LBB2_210:                              ;   in Loop: Header=BB2_213 Depth=1
	s_or_b64 exec, exec, s[6:7]
	v_readfirstlane_b32 s6, v0
	s_cmp_eq_u32 s6, 0
	s_cbranch_scc1 .LBB2_212
; %bb.211:                              ;   in Loop: Header=BB2_213 Depth=1
	s_sleep 1
	s_cbranch_execnz .LBB2_213
	s_branch .LBB2_215
.LBB2_212:
	s_branch .LBB2_215
.LBB2_213:                              ; =>This Inner Loop Header: Depth=1
	v_mov_b32_e32 v0, 1
	s_and_saveexec_b64 s[6:7], s[0:1]
	s_cbranch_execz .LBB2_210
; %bb.214:                              ;   in Loop: Header=BB2_213 Depth=1
	global_load_dword v0, v[8:9], off offset:20 glc
	s_waitcnt vmcnt(0)
	buffer_invl2
	buffer_wbinvl1_vol
	v_and_b32_e32 v0, 1, v0
	s_branch .LBB2_210
.LBB2_215:
	global_load_dwordx2 v[0:1], v[6:7], off
	s_and_saveexec_b64 s[6:7], s[0:1]
	s_cbranch_execz .LBB2_218
; %bb.216:
	v_mov_b32_e32 v8, 0
	global_load_dwordx2 v[6:7], v8, s[2:3] offset:40
	global_load_dwordx2 v[10:11], v8, s[2:3] offset:24 glc
	global_load_dwordx2 v[12:13], v8, s[2:3]
	v_mov_b32_e32 v3, s5
	s_mov_b64 s[0:1], 0
	s_waitcnt vmcnt(2)
	v_add_co_u32_e32 v5, vcc, 1, v6
	v_addc_co_u32_e32 v9, vcc, 0, v7, vcc
	v_add_co_u32_e32 v2, vcc, s4, v5
	v_addc_co_u32_e32 v3, vcc, v9, v3, vcc
	v_cmp_eq_u64_e32 vcc, 0, v[2:3]
	v_cndmask_b32_e32 v3, v3, v9, vcc
	v_cndmask_b32_e32 v2, v2, v5, vcc
	v_and_b32_e32 v5, v3, v7
	v_and_b32_e32 v6, v2, v6
	v_mul_lo_u32 v5, v5, 24
	v_mul_hi_u32 v7, v6, 24
	v_mul_lo_u32 v6, v6, 24
	v_add_u32_e32 v5, v7, v5
	s_waitcnt vmcnt(0)
	v_add_co_u32_e32 v6, vcc, v12, v6
	v_addc_co_u32_e32 v7, vcc, v13, v5, vcc
	v_mov_b32_e32 v4, v10
	global_store_dwordx2 v[6:7], v[10:11], off
	v_mov_b32_e32 v5, v11
	buffer_wbl2
	s_waitcnt vmcnt(0)
	global_atomic_cmpswap_x2 v[4:5], v8, v[2:5], s[2:3] offset:24 glc
	s_waitcnt vmcnt(0)
	v_cmp_ne_u64_e32 vcc, v[4:5], v[10:11]
	s_and_b64 exec, exec, vcc
	s_cbranch_execz .LBB2_218
.LBB2_217:                              ; =>This Inner Loop Header: Depth=1
	s_sleep 1
	global_store_dwordx2 v[6:7], v[4:5], off
	buffer_wbl2
	s_waitcnt vmcnt(0)
	global_atomic_cmpswap_x2 v[10:11], v8, v[2:5], s[2:3] offset:24 glc
	s_waitcnt vmcnt(0)
	v_cmp_eq_u64_e32 vcc, v[10:11], v[4:5]
	s_or_b64 s[0:1], vcc, s[0:1]
	v_pk_mov_b32 v[4:5], v[10:11], v[10:11] op_sel:[0,1]
	s_andn2_b64 exec, exec, s[0:1]
	s_cbranch_execnz .LBB2_217
.LBB2_218:
	s_or_b64 exec, exec, s[6:7]
	v_readfirstlane_b32 s0, v36
	v_cmp_eq_u32_e64 s[0:1], s0, v36
	v_pk_mov_b32 v[2:3], 0, 0
	s_and_saveexec_b64 s[4:5], s[0:1]
	s_cbranch_execz .LBB2_224
; %bb.219:
	v_mov_b32_e32 v4, 0
	global_load_dwordx2 v[8:9], v4, s[2:3] offset:24 glc
	s_waitcnt vmcnt(0)
	buffer_invl2
	buffer_wbinvl1_vol
	global_load_dwordx2 v[2:3], v4, s[2:3] offset:40
	global_load_dwordx2 v[6:7], v4, s[2:3]
	s_waitcnt vmcnt(1)
	v_and_b32_e32 v2, v2, v8
	v_and_b32_e32 v3, v3, v9
	v_mul_lo_u32 v3, v3, 24
	v_mul_hi_u32 v5, v2, 24
	v_mul_lo_u32 v2, v2, 24
	v_add_u32_e32 v3, v5, v3
	s_waitcnt vmcnt(0)
	v_add_co_u32_e32 v2, vcc, v6, v2
	v_addc_co_u32_e32 v3, vcc, v7, v3, vcc
	global_load_dwordx2 v[6:7], v[2:3], off glc
	s_waitcnt vmcnt(0)
	global_atomic_cmpswap_x2 v[2:3], v4, v[6:9], s[2:3] offset:24 glc
	s_waitcnt vmcnt(0)
	buffer_invl2
	buffer_wbinvl1_vol
	v_cmp_ne_u64_e32 vcc, v[2:3], v[8:9]
	s_and_saveexec_b64 s[6:7], vcc
	s_cbranch_execz .LBB2_223
; %bb.220:
	s_mov_b64 s[8:9], 0
.LBB2_221:                              ; =>This Inner Loop Header: Depth=1
	s_sleep 1
	global_load_dwordx2 v[6:7], v4, s[2:3] offset:40
	global_load_dwordx2 v[10:11], v4, s[2:3]
	v_pk_mov_b32 v[8:9], v[2:3], v[2:3] op_sel:[0,1]
	s_waitcnt vmcnt(1)
	v_and_b32_e32 v2, v6, v8
	s_waitcnt vmcnt(0)
	v_mad_u64_u32 v[2:3], s[10:11], v2, 24, v[10:11]
	v_and_b32_e32 v5, v7, v9
	v_mov_b32_e32 v6, v3
	v_mad_u64_u32 v[6:7], s[10:11], v5, 24, v[6:7]
	v_mov_b32_e32 v3, v6
	global_load_dwordx2 v[6:7], v[2:3], off glc
	s_waitcnt vmcnt(0)
	global_atomic_cmpswap_x2 v[2:3], v4, v[6:9], s[2:3] offset:24 glc
	s_waitcnt vmcnt(0)
	buffer_invl2
	buffer_wbinvl1_vol
	v_cmp_eq_u64_e32 vcc, v[2:3], v[8:9]
	s_or_b64 s[8:9], vcc, s[8:9]
	s_andn2_b64 exec, exec, s[8:9]
	s_cbranch_execnz .LBB2_221
; %bb.222:
	s_or_b64 exec, exec, s[8:9]
.LBB2_223:
	s_or_b64 exec, exec, s[6:7]
.LBB2_224:
	s_or_b64 exec, exec, s[4:5]
	v_mov_b32_e32 v10, 0
	global_load_dwordx2 v[8:9], v10, s[2:3] offset:40
	global_load_dwordx4 v[4:7], v10, s[2:3]
	v_readfirstlane_b32 s4, v2
	v_readfirstlane_b32 s5, v3
	s_mov_b64 s[6:7], exec
	s_waitcnt vmcnt(1)
	v_readfirstlane_b32 s8, v8
	v_readfirstlane_b32 s9, v9
	s_and_b64 s[8:9], s[4:5], s[8:9]
	s_mul_i32 s10, s9, 24
	s_mul_hi_u32 s11, s8, 24
	s_mul_i32 s12, s8, 24
	s_add_i32 s10, s11, s10
	v_mov_b32_e32 v2, s10
	s_waitcnt vmcnt(0)
	v_add_co_u32_e32 v8, vcc, s12, v4
	v_addc_co_u32_e32 v9, vcc, v5, v2, vcc
	s_and_saveexec_b64 s[10:11], s[0:1]
	s_cbranch_execz .LBB2_226
; %bb.225:
	v_pk_mov_b32 v[10:11], s[6:7], s[6:7] op_sel:[0,1]
	v_mov_b32_e32 v12, 2
	v_mov_b32_e32 v13, 1
	global_store_dwordx4 v[8:9], v[10:13], off offset:8
.LBB2_226:
	s_or_b64 exec, exec, s[10:11]
	s_lshl_b64 s[6:7], s[8:9], 12
	v_mov_b32_e32 v2, s7
	v_add_co_u32_e32 v6, vcc, s6, v6
	v_addc_co_u32_e32 v7, vcc, v7, v2, vcc
	s_movk_i32 s6, 0xff1d
	s_mov_b32 s8, 0
	v_and_or_b32 v0, v0, s6, 34
	v_cvt_f64_f32_e32 v[2:3], v29
	v_readfirstlane_b32 s6, v6
	v_readfirstlane_b32 s7, v7
	s_mov_b32 s9, s8
	s_mov_b32 s10, s8
	s_mov_b32 s11, s8
	s_nop 1
	global_store_dwordx4 v31, v[0:3], s[6:7]
	s_nop 0
	v_pk_mov_b32 v[0:1], s[8:9], s[8:9] op_sel:[0,1]
	v_pk_mov_b32 v[2:3], s[10:11], s[10:11] op_sel:[0,1]
	global_store_dwordx4 v31, v[0:3], s[6:7] offset:16
	global_store_dwordx4 v31, v[0:3], s[6:7] offset:32
	;; [unrolled: 1-line block ×3, first 2 shown]
	s_and_saveexec_b64 s[6:7], s[0:1]
	s_cbranch_execz .LBB2_234
; %bb.227:
	v_mov_b32_e32 v6, 0
	global_load_dwordx2 v[12:13], v6, s[2:3] offset:32 glc
	global_load_dwordx2 v[0:1], v6, s[2:3] offset:40
	v_mov_b32_e32 v10, s4
	v_mov_b32_e32 v11, s5
	s_waitcnt vmcnt(0)
	v_readfirstlane_b32 s8, v0
	v_readfirstlane_b32 s9, v1
	s_and_b64 s[8:9], s[8:9], s[4:5]
	s_mul_i32 s9, s9, 24
	s_mul_hi_u32 s10, s8, 24
	s_mul_i32 s8, s8, 24
	s_add_i32 s9, s10, s9
	v_mov_b32_e32 v0, s9
	v_add_co_u32_e32 v4, vcc, s8, v4
	v_addc_co_u32_e32 v5, vcc, v5, v0, vcc
	global_store_dwordx2 v[4:5], v[12:13], off
	buffer_wbl2
	s_waitcnt vmcnt(0)
	global_atomic_cmpswap_x2 v[2:3], v6, v[10:13], s[2:3] offset:32 glc
	s_waitcnt vmcnt(0)
	v_cmp_ne_u64_e32 vcc, v[2:3], v[12:13]
	s_and_saveexec_b64 s[8:9], vcc
	s_cbranch_execz .LBB2_230
; %bb.228:
	s_mov_b64 s[10:11], 0
.LBB2_229:                              ; =>This Inner Loop Header: Depth=1
	s_sleep 1
	global_store_dwordx2 v[4:5], v[2:3], off
	v_mov_b32_e32 v0, s4
	v_mov_b32_e32 v1, s5
	buffer_wbl2
	s_waitcnt vmcnt(0)
	global_atomic_cmpswap_x2 v[0:1], v6, v[0:3], s[2:3] offset:32 glc
	s_waitcnt vmcnt(0)
	v_cmp_eq_u64_e32 vcc, v[0:1], v[2:3]
	s_or_b64 s[10:11], vcc, s[10:11]
	v_pk_mov_b32 v[2:3], v[0:1], v[0:1] op_sel:[0,1]
	s_andn2_b64 exec, exec, s[10:11]
	s_cbranch_execnz .LBB2_229
.LBB2_230:
	s_or_b64 exec, exec, s[8:9]
	v_mov_b32_e32 v3, 0
	global_load_dwordx2 v[0:1], v3, s[2:3] offset:16
	s_mov_b64 s[8:9], exec
	v_mbcnt_lo_u32_b32 v2, s8, 0
	v_mbcnt_hi_u32_b32 v2, s9, v2
	v_cmp_eq_u32_e32 vcc, 0, v2
	s_and_saveexec_b64 s[10:11], vcc
	s_cbranch_execz .LBB2_232
; %bb.231:
	s_bcnt1_i32_b64 s8, s[8:9]
	v_mov_b32_e32 v2, s8
	buffer_wbl2
	s_waitcnt vmcnt(0)
	global_atomic_add_x2 v[0:1], v[2:3], off offset:8
.LBB2_232:
	s_or_b64 exec, exec, s[10:11]
	s_waitcnt vmcnt(0)
	global_load_dwordx2 v[2:3], v[0:1], off offset:16
	s_waitcnt vmcnt(0)
	v_cmp_eq_u64_e32 vcc, 0, v[2:3]
	s_cbranch_vccnz .LBB2_234
; %bb.233:
	global_load_dword v0, v[0:1], off offset:24
	v_mov_b32_e32 v1, 0
	buffer_wbl2
	s_waitcnt vmcnt(0)
	global_store_dwordx2 v[2:3], v[0:1], off
	v_and_b32_e32 v0, 0xffffff, v0
	v_readfirstlane_b32 m0, v0
	s_sendmsg sendmsg(MSG_INTERRUPT)
.LBB2_234:
	s_or_b64 exec, exec, s[6:7]
	s_branch .LBB2_238
.LBB2_235:                              ;   in Loop: Header=BB2_238 Depth=1
	s_or_b64 exec, exec, s[6:7]
	v_readfirstlane_b32 s6, v0
	s_cmp_eq_u32 s6, 0
	s_cbranch_scc1 .LBB2_237
; %bb.236:                              ;   in Loop: Header=BB2_238 Depth=1
	s_sleep 1
	s_cbranch_execnz .LBB2_238
	s_branch .LBB2_240
.LBB2_237:
	s_branch .LBB2_240
.LBB2_238:                              ; =>This Inner Loop Header: Depth=1
	v_mov_b32_e32 v0, 1
	s_and_saveexec_b64 s[6:7], s[0:1]
	s_cbranch_execz .LBB2_235
; %bb.239:                              ;   in Loop: Header=BB2_238 Depth=1
	global_load_dword v0, v[8:9], off offset:20 glc
	s_waitcnt vmcnt(0)
	buffer_invl2
	buffer_wbinvl1_vol
	v_and_b32_e32 v0, 1, v0
	s_branch .LBB2_235
.LBB2_240:
	s_and_b64 exec, exec, s[0:1]
	s_cbranch_execz .LBB2_243
; %bb.241:
	v_mov_b32_e32 v6, 0
	global_load_dwordx2 v[4:5], v6, s[2:3] offset:40
	global_load_dwordx2 v[8:9], v6, s[2:3] offset:24 glc
	global_load_dwordx2 v[10:11], v6, s[2:3]
	v_mov_b32_e32 v1, s5
	s_mov_b64 s[0:1], 0
	s_waitcnt vmcnt(2)
	v_add_co_u32_e32 v3, vcc, 1, v4
	v_addc_co_u32_e32 v7, vcc, 0, v5, vcc
	v_add_co_u32_e32 v0, vcc, s4, v3
	v_addc_co_u32_e32 v1, vcc, v7, v1, vcc
	v_cmp_eq_u64_e32 vcc, 0, v[0:1]
	v_cndmask_b32_e32 v1, v1, v7, vcc
	v_cndmask_b32_e32 v0, v0, v3, vcc
	v_and_b32_e32 v3, v1, v5
	v_and_b32_e32 v4, v0, v4
	v_mul_lo_u32 v3, v3, 24
	v_mul_hi_u32 v5, v4, 24
	v_mul_lo_u32 v4, v4, 24
	v_add_u32_e32 v3, v5, v3
	s_waitcnt vmcnt(0)
	v_add_co_u32_e32 v4, vcc, v10, v4
	v_addc_co_u32_e32 v5, vcc, v11, v3, vcc
	v_mov_b32_e32 v2, v8
	global_store_dwordx2 v[4:5], v[8:9], off
	v_mov_b32_e32 v3, v9
	buffer_wbl2
	s_waitcnt vmcnt(0)
	global_atomic_cmpswap_x2 v[2:3], v6, v[0:3], s[2:3] offset:24 glc
	s_waitcnt vmcnt(0)
	v_cmp_ne_u64_e32 vcc, v[2:3], v[8:9]
	s_and_b64 exec, exec, vcc
	s_cbranch_execz .LBB2_243
.LBB2_242:                              ; =>This Inner Loop Header: Depth=1
	s_sleep 1
	global_store_dwordx2 v[4:5], v[2:3], off
	buffer_wbl2
	s_waitcnt vmcnt(0)
	global_atomic_cmpswap_x2 v[8:9], v6, v[0:3], s[2:3] offset:24 glc
	s_waitcnt vmcnt(0)
	v_cmp_eq_u64_e32 vcc, v[8:9], v[2:3]
	s_or_b64 s[0:1], vcc, s[0:1]
	v_pk_mov_b32 v[2:3], v[8:9], v[8:9] op_sel:[0,1]
	s_andn2_b64 exec, exec, s[0:1]
	s_cbranch_execnz .LBB2_242
.LBB2_243:
	s_endpgm
	.section	.rodata,"a",@progbits
	.p2align	6, 0x0
	.amdhsa_kernel _Z32check_int4_quantized_correctnessP7uint4_2P6__halfS2_S1_S1_i
		.amdhsa_group_segment_fixed_size 0
		.amdhsa_private_segment_fixed_size 0
		.amdhsa_kernarg_size 288
		.amdhsa_user_sgpr_count 6
		.amdhsa_user_sgpr_private_segment_buffer 1
		.amdhsa_user_sgpr_dispatch_ptr 0
		.amdhsa_user_sgpr_queue_ptr 0
		.amdhsa_user_sgpr_kernarg_segment_ptr 1
		.amdhsa_user_sgpr_dispatch_id 0
		.amdhsa_user_sgpr_flat_scratch_init 0
		.amdhsa_user_sgpr_kernarg_preload_length 0
		.amdhsa_user_sgpr_kernarg_preload_offset 0
		.amdhsa_user_sgpr_private_segment_size 0
		.amdhsa_uses_dynamic_stack 0
		.amdhsa_system_sgpr_private_segment_wavefront_offset 0
		.amdhsa_system_sgpr_workgroup_id_x 1
		.amdhsa_system_sgpr_workgroup_id_y 0
		.amdhsa_system_sgpr_workgroup_id_z 0
		.amdhsa_system_sgpr_workgroup_info 0
		.amdhsa_system_vgpr_workitem_id 0
		.amdhsa_next_free_vgpr 39
		.amdhsa_next_free_sgpr 19
		.amdhsa_accum_offset 40
		.amdhsa_reserve_vcc 1
		.amdhsa_reserve_flat_scratch 0
		.amdhsa_float_round_mode_32 0
		.amdhsa_float_round_mode_16_64 0
		.amdhsa_float_denorm_mode_32 3
		.amdhsa_float_denorm_mode_16_64 3
		.amdhsa_dx10_clamp 1
		.amdhsa_ieee_mode 1
		.amdhsa_fp16_overflow 0
		.amdhsa_tg_split 0
		.amdhsa_exception_fp_ieee_invalid_op 0
		.amdhsa_exception_fp_denorm_src 0
		.amdhsa_exception_fp_ieee_div_zero 0
		.amdhsa_exception_fp_ieee_overflow 0
		.amdhsa_exception_fp_ieee_underflow 0
		.amdhsa_exception_fp_ieee_inexact 0
		.amdhsa_exception_int_div_zero 0
	.end_amdhsa_kernel
	.text
.Lfunc_end2:
	.size	_Z32check_int4_quantized_correctnessP7uint4_2P6__halfS2_S1_S1_i, .Lfunc_end2-_Z32check_int4_quantized_correctnessP7uint4_2P6__halfS2_S1_S1_i
                                        ; -- End function
	.section	.AMDGPU.csdata,"",@progbits
; Kernel info:
; codeLenInByte = 10160
; NumSgprs: 23
; NumVgprs: 39
; NumAgprs: 0
; TotalNumVgprs: 39
; ScratchSize: 0
; MemoryBound: 0
; FloatMode: 240
; IeeeMode: 1
; LDSByteSize: 0 bytes/workgroup (compile time only)
; SGPRBlocks: 2
; VGPRBlocks: 4
; NumSGPRsForWavesPerEU: 23
; NumVGPRsForWavesPerEU: 39
; AccumOffset: 40
; Occupancy: 8
; WaveLimiterHint : 1
; COMPUTE_PGM_RSRC2:SCRATCH_EN: 0
; COMPUTE_PGM_RSRC2:USER_SGPR: 6
; COMPUTE_PGM_RSRC2:TRAP_HANDLER: 0
; COMPUTE_PGM_RSRC2:TGID_X_EN: 1
; COMPUTE_PGM_RSRC2:TGID_Y_EN: 0
; COMPUTE_PGM_RSRC2:TGID_Z_EN: 0
; COMPUTE_PGM_RSRC2:TIDIG_COMP_CNT: 0
; COMPUTE_PGM_RSRC3_GFX90A:ACCUM_OFFSET: 9
; COMPUTE_PGM_RSRC3_GFX90A:TG_SPLIT: 0
	.section	.text._Z19gemv_quantized_int4ILj64EEvP7uint4_2P6__halfS3_jS2_S2_j,"axG",@progbits,_Z19gemv_quantized_int4ILj64EEvP7uint4_2P6__halfS3_jS2_S2_j,comdat
	.protected	_Z19gemv_quantized_int4ILj64EEvP7uint4_2P6__halfS3_jS2_S2_j ; -- Begin function _Z19gemv_quantized_int4ILj64EEvP7uint4_2P6__halfS3_jS2_S2_j
	.globl	_Z19gemv_quantized_int4ILj64EEvP7uint4_2P6__halfS3_jS2_S2_j
	.p2align	8
	.type	_Z19gemv_quantized_int4ILj64EEvP7uint4_2P6__halfS3_jS2_S2_j,@function
_Z19gemv_quantized_int4ILj64EEvP7uint4_2P6__halfS3_jS2_S2_j: ; @_Z19gemv_quantized_int4ILj64EEvP7uint4_2P6__halfS3_jS2_S2_j
; %bb.0:
	v_mov_b32_e32 v7, 0
	global_load_dword v5, v7, s[4:5] offset:28
	s_load_dword s6, s[4:5], 0x20
	s_load_dword s12, s[4:5], 0x34
	s_load_dwordx4 s[0:3], s[4:5], 0x0
	s_load_dwordx2 s[8:9], s[4:5], 0x10
	s_add_u32 s10, s4, 40
	s_addc_u32 s11, s5, 0
	s_waitcnt lgkmcnt(0)
	s_lshr_b32 s12, s12, 16
	s_mul_i32 s7, s7, s12
	v_bfe_u32 v4, v0, 10, 10
	v_and_b32_e32 v1, 0x3ff, v0
	s_cmp_lt_u32 s6, 16
	v_add_u32_e32 v0, s7, v4
	s_cbranch_scc1 .LBB3_5
; %bb.1:
	s_load_dword s7, s[10:11], 0xc
	s_load_dword s12, s[4:5], 0x18
	s_waitcnt vmcnt(0)
	v_cvt_f32_f16_sdwa v6, v5 dst_sel:DWORD dst_unused:UNUSED_PAD src0_sel:WORD_1
	v_mov_b32_e32 v3, 0
	s_lshr_b32 s6, s6, 4
	s_waitcnt lgkmcnt(0)
	s_and_b32 s4, s7, 0xffff
	s_lshr_b32 s7, s12, 3
	v_mul_lo_u32 v8, v0, s7
	v_lshlrev_b32_e32 v2, 1, v1
	s_lshl_b32 s12, s4, 1
	v_mov_b32_e32 v7, v3
	s_branch .LBB3_3
.LBB3_2:                                ;   in Loop: Header=BB3_3 Depth=1
	s_or_b64 exec, exec, s[4:5]
	s_add_i32 s6, s6, -1
	s_cmp_eq_u32 s6, 0
	v_add_u32_e32 v2, s12, v2
	s_cbranch_scc1 .LBB3_5
.LBB3_3:                                ; =>This Inner Loop Header: Depth=1
	v_cmp_gt_u32_e32 vcc, s7, v2
	s_and_saveexec_b64 s[4:5], vcc
	s_cbranch_execz .LBB3_2
; %bb.4:                                ;   in Loop: Header=BB3_3 Depth=1
	v_add_u32_e32 v10, v8, v2
	v_mov_b32_e32 v11, v3
	v_lshlrev_b64 v[12:13], 2, v[10:11]
	v_mov_b32_e32 v9, s1
	v_add_co_u32_e32 v12, vcc, s0, v12
	v_add_u32_e32 v10, 1, v10
	v_addc_co_u32_e32 v13, vcc, v9, v13, vcc
	v_lshlrev_b64 v[10:11], 2, v[10:11]
	v_add_co_u32_e32 v10, vcc, s0, v10
	global_load_dword v20, v[12:13], off
	v_addc_co_u32_e32 v11, vcc, v9, v11, vcc
	global_load_dword v9, v[10:11], off
	v_lshlrev_b64 v[10:11], 4, v[2:3]
	v_mov_b32_e32 v12, s3
	v_add_co_u32_e32 v18, vcc, s2, v10
	v_addc_co_u32_e32 v19, vcc, v12, v11, vcc
	global_load_dwordx4 v[10:13], v[18:19], off
	global_load_dwordx4 v[14:17], v[18:19], off offset:16
	s_waitcnt vmcnt(3)
	v_and_b32_e32 v19, 15, v20
	v_lshrrev_b16_e32 v21, 4, v20
	v_lshrrev_b32_e32 v18, 8, v20
	v_cvt_f32_ubyte0_e32 v19, v19
	v_and_b32_e32 v21, 15, v21
	v_bfe_u32 v22, v20, 8, 4
	v_lshrrev_b16_e32 v18, 4, v18
	v_sub_f32_e32 v19, v19, v6
	v_cvt_f32_ubyte0_e32 v21, v21
	v_cvt_f32_ubyte0_e32 v22, v22
	v_and_b32_e32 v18, 15, v18
	s_waitcnt vmcnt(1)
	v_fma_mix_f32 v7, v19, v10, v7 op_sel_hi:[0,1,0]
	v_sub_f32_e32 v19, v21, v6
	v_bfe_u32 v23, v20, 16, 4
	v_sub_f32_e32 v22, v22, v6
	v_cvt_f32_ubyte0_e32 v18, v18
	v_fma_mix_f32 v7, v19, v10, v7 op_sel:[0,1,0] op_sel_hi:[0,1,0]
	v_bfe_u32 v24, v20, 20, 4
	v_cvt_f32_ubyte0_e32 v23, v23
	v_sub_f32_e32 v10, v18, v6
	v_fma_mix_f32 v7, v22, v11, v7 op_sel_hi:[0,1,0]
	v_bfe_u32 v25, v20, 24, 4
	v_cvt_f32_ubyte0_e32 v24, v24
	v_sub_f32_e32 v23, v23, v6
	v_fma_mix_f32 v7, v10, v11, v7 op_sel:[0,1,0] op_sel_hi:[0,1,0]
	v_lshrrev_b32_e32 v20, 28, v20
	v_cvt_f32_ubyte0_e32 v25, v25
	v_sub_f32_e32 v24, v24, v6
	v_fma_mix_f32 v7, v23, v12, v7 op_sel_hi:[0,1,0]
	v_cvt_f32_ubyte0_e32 v20, v20
	v_and_b32_e32 v27, 15, v9
	v_lshrrev_b16_e32 v28, 4, v9
	v_sub_f32_e32 v25, v25, v6
	v_fma_mix_f32 v7, v24, v12, v7 op_sel:[0,1,0] op_sel_hi:[0,1,0]
	v_lshrrev_b32_e32 v26, 8, v9
	v_sub_f32_e32 v20, v20, v6
	v_cvt_f32_ubyte0_e32 v27, v27
	v_and_b32_e32 v28, 15, v28
	v_fma_mix_f32 v7, v25, v13, v7 op_sel_hi:[0,1,0]
	v_bfe_u32 v29, v9, 8, 4
	v_lshrrev_b16_e32 v26, 4, v26
	v_sub_f32_e32 v21, v27, v6
	v_cvt_f32_ubyte0_e32 v27, v28
	v_fma_mix_f32 v7, v20, v13, v7 op_sel:[0,1,0] op_sel_hi:[0,1,0]
	v_cvt_f32_ubyte0_e32 v29, v29
	v_and_b32_e32 v26, 15, v26
	v_sub_f32_e32 v18, v27, v6
	s_waitcnt vmcnt(0)
	v_fma_mix_f32 v7, v21, v14, v7 op_sel_hi:[0,1,0]
	v_bfe_u32 v30, v9, 16, 4
	v_sub_f32_e32 v28, v29, v6
	v_cvt_f32_ubyte0_e32 v19, v26
	v_fma_mix_f32 v7, v18, v14, v7 op_sel:[0,1,0] op_sel_hi:[0,1,0]
	v_bfe_u32 v31, v9, 20, 4
	v_cvt_f32_ubyte0_e32 v30, v30
	v_sub_f32_e32 v19, v19, v6
	v_fma_mix_f32 v7, v28, v15, v7 op_sel_hi:[0,1,0]
	v_bfe_u32 v32, v9, 24, 4
	v_cvt_f32_ubyte0_e32 v31, v31
	v_sub_f32_e32 v29, v30, v6
	v_fma_mix_f32 v7, v19, v15, v7 op_sel:[0,1,0] op_sel_hi:[0,1,0]
	v_lshrrev_b32_e32 v9, 28, v9
	v_cvt_f32_ubyte0_e32 v32, v32
	v_sub_f32_e32 v30, v31, v6
	v_fma_mix_f32 v7, v29, v16, v7 op_sel_hi:[0,1,0]
	v_cvt_f32_ubyte0_e32 v9, v9
	v_sub_f32_e32 v31, v32, v6
	v_fma_mix_f32 v7, v30, v16, v7 op_sel:[0,1,0] op_sel_hi:[0,1,0]
	v_fma_mix_f32 v7, v31, v17, v7 op_sel_hi:[0,1,0]
	v_sub_f32_e32 v9, v9, v6
	v_fma_mix_f32 v7, v9, v17, v7 op_sel:[0,1,0] op_sel_hi:[0,1,0]
	s_branch .LBB3_2
.LBB3_5:
	s_load_dword s0, s[10:11], 0xc
	s_waitcnt vmcnt(0)
	v_cvt_f32_f16_e32 v2, v5
	v_mul_f32_e32 v2, v7, v2
	s_waitcnt lgkmcnt(0)
	s_and_b32 s2, s0, 0xffff
	s_cmp_lt_u32 s2, 64
	s_cbranch_scc0 .LBB3_26
; %bb.6:
	s_cmp_lt_u32 s2, 32
	s_cbranch_scc0 .LBB3_27
.LBB3_7:
	s_cmp_lt_u32 s2, 16
	s_cbranch_scc0 .LBB3_28
.LBB3_8:
	s_cmp_lt_u32 s2, 8
	s_cbranch_scc0 .LBB3_29
.LBB3_9:
	s_cmp_lt_u32 s2, 4
	s_cbranch_scc0 .LBB3_30
.LBB3_10:
	s_cmp_lt_u32 s2, 2
	s_cbranch_scc0 .LBB3_31
.LBB3_11:
	s_cmp_gt_u32 s2, 64
	s_cbranch_scc0 .LBB3_32
.LBB3_12:
	v_and_b32_e32 v5, 63, v1
	v_cmp_eq_u32_e32 vcc, 0, v5
	s_and_saveexec_b64 s[0:1], vcc
	s_cbranch_execz .LBB3_14
; %bb.13:
	v_lshrrev_b32_e32 v3, 4, v1
	v_lshl_or_b32 v3, v4, 8, v3
	ds_write_b32 v3, v2
.LBB3_14:
	s_or_b64 exec, exec, s[0:1]
	s_lshr_b32 s0, s2, 6
	v_cmp_gt_u32_e32 vcc, s0, v1
	v_mov_b32_e32 v3, 0
	s_waitcnt lgkmcnt(0)
	s_barrier
	s_and_saveexec_b64 s[0:1], vcc
	s_cbranch_execz .LBB3_16
; %bb.15:
	v_lshlrev_b32_e32 v3, 2, v5
	v_lshl_or_b32 v3, v4, 8, v3
	ds_read_b32 v3, v3
.LBB3_16:
	s_or_b64 exec, exec, s[0:1]
	v_cmp_gt_u32_e32 vcc, 64, v1
	s_and_saveexec_b64 s[0:1], vcc
	s_cbranch_execz .LBB3_24
; %bb.17:
	s_cmpk_lt_u32 s2, 0x1000
	v_mbcnt_lo_u32_b32 v4, -1, 0
	s_cbranch_scc0 .LBB3_36
; %bb.18:
	s_cmpk_lt_u32 s2, 0x800
	s_cbranch_scc0 .LBB3_37
.LBB3_19:
	s_cmpk_lt_u32 s2, 0x400
	s_cbranch_scc0 .LBB3_38
.LBB3_20:
	s_cmpk_lt_u32 s2, 0x200
	s_cbranch_scc0 .LBB3_39
.LBB3_21:
	s_cmpk_lt_u32 s2, 0x100
	s_cbranch_scc0 .LBB3_40
.LBB3_22:
	s_cmpk_lt_u32 s2, 0x80
	s_cbranch_scc1 .LBB3_24
.LBB3_23:
	v_mbcnt_hi_u32_b32 v4, -1, v4
	v_and_b32_e32 v5, 63, v4
	v_cmp_ne_u32_e32 vcc, 63, v5
	v_addc_co_u32_e32 v4, vcc, 0, v4, vcc
	v_lshlrev_b32_e32 v4, 2, v4
	s_waitcnt lgkmcnt(0)
	ds_bpermute_b32 v4, v4, v3
	s_waitcnt lgkmcnt(0)
	v_add_f32_e32 v3, v3, v4
.LBB3_24:
	s_or_b64 exec, exec, s[0:1]
	v_cmp_eq_u32_e64 s[0:1], 0, v1
.LBB3_25:
	s_waitcnt lgkmcnt(0)
	v_mov_b32_e32 v2, v3
	s_and_saveexec_b64 s[2:3], s[0:1]
	s_cbranch_execnz .LBB3_34
	s_branch .LBB3_35
.LBB3_26:
	v_mbcnt_lo_u32_b32 v3, -1, 0
	v_mbcnt_hi_u32_b32 v3, -1, v3
	v_mov_b32_e32 v5, 0x80
	v_lshl_or_b32 v3, v3, 2, v5
	ds_bpermute_b32 v3, v3, v2
	s_waitcnt lgkmcnt(0)
	v_add_f32_e32 v2, v2, v3
	s_cmp_lt_u32 s2, 32
	s_cbranch_scc1 .LBB3_7
.LBB3_27:
	v_mbcnt_lo_u32_b32 v3, -1, 0
	v_mbcnt_hi_u32_b32 v3, -1, v3
	v_and_b32_e32 v5, 48, v3
	v_cmp_ne_u32_e32 vcc, 48, v5
	v_cndmask_b32_e64 v5, 0, 1, vcc
	v_lshlrev_b32_e32 v5, 4, v5
	v_add_lshl_u32 v3, v5, v3, 2
	ds_bpermute_b32 v3, v3, v2
	s_waitcnt lgkmcnt(0)
	v_add_f32_e32 v2, v2, v3
	s_cmp_lt_u32 s2, 16
	s_cbranch_scc1 .LBB3_8
.LBB3_28:
	v_mbcnt_lo_u32_b32 v3, -1, 0
	v_mbcnt_hi_u32_b32 v3, -1, v3
	v_and_b32_e32 v5, 56, v3
	v_cmp_ne_u32_e32 vcc, 56, v5
	v_cndmask_b32_e64 v5, 0, 1, vcc
	v_lshlrev_b32_e32 v5, 3, v5
	v_add_lshl_u32 v3, v5, v3, 2
	ds_bpermute_b32 v3, v3, v2
	s_waitcnt lgkmcnt(0)
	v_add_f32_e32 v2, v2, v3
	s_cmp_lt_u32 s2, 8
	s_cbranch_scc1 .LBB3_9
.LBB3_29:
	v_mbcnt_lo_u32_b32 v3, -1, 0
	v_mbcnt_hi_u32_b32 v3, -1, v3
	v_and_b32_e32 v5, 60, v3
	v_cmp_ne_u32_e32 vcc, 60, v5
	v_cndmask_b32_e64 v5, 0, 1, vcc
	v_lshlrev_b32_e32 v5, 2, v5
	v_add_lshl_u32 v3, v5, v3, 2
	ds_bpermute_b32 v3, v3, v2
	s_waitcnt lgkmcnt(0)
	v_add_f32_e32 v2, v2, v3
	s_cmp_lt_u32 s2, 4
	s_cbranch_scc1 .LBB3_10
.LBB3_30:
	v_mbcnt_lo_u32_b32 v3, -1, 0
	v_mbcnt_hi_u32_b32 v3, -1, v3
	v_and_b32_e32 v5, 62, v3
	v_cmp_ne_u32_e32 vcc, 62, v5
	v_cndmask_b32_e64 v5, 0, 1, vcc
	v_lshlrev_b32_e32 v5, 1, v5
	v_add_lshl_u32 v3, v5, v3, 2
	ds_bpermute_b32 v3, v3, v2
	s_waitcnt lgkmcnt(0)
	v_add_f32_e32 v2, v2, v3
	s_cmp_lt_u32 s2, 2
	s_cbranch_scc1 .LBB3_11
.LBB3_31:
	v_mbcnt_lo_u32_b32 v3, -1, 0
	v_mbcnt_hi_u32_b32 v3, -1, v3
	v_and_b32_e32 v5, 63, v3
	v_cmp_ne_u32_e32 vcc, 63, v5
	v_addc_co_u32_e32 v3, vcc, 0, v3, vcc
	v_lshlrev_b32_e32 v3, 2, v3
	ds_bpermute_b32 v3, v3, v2
	s_waitcnt lgkmcnt(0)
	v_add_f32_e32 v2, v2, v3
	s_cmp_gt_u32 s2, 64
	s_cbranch_scc1 .LBB3_12
.LBB3_32:
	s_mov_b64 s[0:1], 0
                                        ; implicit-def: $vgpr3
	s_cbranch_execz .LBB3_25
; %bb.33:
	v_cmp_eq_u32_e32 vcc, 0, v1
	s_andn2_b64 s[0:1], s[0:1], exec
	s_and_b64 s[2:3], vcc, exec
	s_or_b64 s[0:1], s[0:1], s[2:3]
	s_and_saveexec_b64 s[2:3], s[0:1]
	s_cbranch_execz .LBB3_35
.LBB3_34:
	v_mov_b32_e32 v1, 0
	v_cvt_f16_f32_e32 v2, v2
	v_lshlrev_b64 v[0:1], 1, v[0:1]
	s_waitcnt lgkmcnt(0)
	v_mov_b32_e32 v3, s9
	v_add_co_u32_e32 v0, vcc, s8, v0
	v_addc_co_u32_e32 v1, vcc, v3, v1, vcc
	global_store_short v[0:1], v2, off
.LBB3_35:
	s_endpgm
.LBB3_36:
	v_mbcnt_hi_u32_b32 v5, -1, v4
	v_mov_b32_e32 v6, 0x80
	v_lshl_or_b32 v5, v5, 2, v6
	s_waitcnt lgkmcnt(0)
	ds_bpermute_b32 v5, v5, v3
	s_waitcnt lgkmcnt(0)
	v_add_f32_e32 v3, v3, v5
	s_cmpk_lt_u32 s2, 0x800
	s_cbranch_scc1 .LBB3_19
.LBB3_37:
	v_mbcnt_hi_u32_b32 v5, -1, v4
	v_and_b32_e32 v6, 48, v5
	v_cmp_ne_u32_e32 vcc, 48, v6
	v_cndmask_b32_e64 v6, 0, 1, vcc
	v_lshlrev_b32_e32 v6, 4, v6
	v_add_lshl_u32 v5, v6, v5, 2
	s_waitcnt lgkmcnt(0)
	ds_bpermute_b32 v5, v5, v3
	s_waitcnt lgkmcnt(0)
	v_add_f32_e32 v3, v3, v5
	s_cmpk_lt_u32 s2, 0x400
	s_cbranch_scc1 .LBB3_20
.LBB3_38:
	v_mbcnt_hi_u32_b32 v5, -1, v4
	v_and_b32_e32 v6, 56, v5
	v_cmp_ne_u32_e32 vcc, 56, v6
	v_cndmask_b32_e64 v6, 0, 1, vcc
	v_lshlrev_b32_e32 v6, 3, v6
	v_add_lshl_u32 v5, v6, v5, 2
	s_waitcnt lgkmcnt(0)
	ds_bpermute_b32 v5, v5, v3
	s_waitcnt lgkmcnt(0)
	v_add_f32_e32 v3, v3, v5
	s_cmpk_lt_u32 s2, 0x200
	s_cbranch_scc1 .LBB3_21
.LBB3_39:
	v_mbcnt_hi_u32_b32 v5, -1, v4
	v_and_b32_e32 v6, 60, v5
	v_cmp_ne_u32_e32 vcc, 60, v6
	v_cndmask_b32_e64 v6, 0, 1, vcc
	v_lshlrev_b32_e32 v6, 2, v6
	v_add_lshl_u32 v5, v6, v5, 2
	s_waitcnt lgkmcnt(0)
	ds_bpermute_b32 v5, v5, v3
	s_waitcnt lgkmcnt(0)
	v_add_f32_e32 v3, v3, v5
	s_cmpk_lt_u32 s2, 0x100
	s_cbranch_scc1 .LBB3_22
.LBB3_40:
	v_mbcnt_hi_u32_b32 v5, -1, v4
	v_and_b32_e32 v6, 62, v5
	v_cmp_ne_u32_e32 vcc, 62, v6
	v_cndmask_b32_e64 v6, 0, 1, vcc
	v_lshlrev_b32_e32 v6, 1, v6
	v_add_lshl_u32 v5, v6, v5, 2
	s_waitcnt lgkmcnt(0)
	ds_bpermute_b32 v5, v5, v3
	s_waitcnt lgkmcnt(0)
	v_add_f32_e32 v3, v3, v5
	s_cmpk_lt_u32 s2, 0x80
	s_cbranch_scc0 .LBB3_23
	s_branch .LBB3_24
	.section	.rodata,"a",@progbits
	.p2align	6, 0x0
	.amdhsa_kernel _Z19gemv_quantized_int4ILj64EEvP7uint4_2P6__halfS3_jS2_S2_j
		.amdhsa_group_segment_fixed_size 16384
		.amdhsa_private_segment_fixed_size 0
		.amdhsa_kernarg_size 296
		.amdhsa_user_sgpr_count 6
		.amdhsa_user_sgpr_private_segment_buffer 1
		.amdhsa_user_sgpr_dispatch_ptr 0
		.amdhsa_user_sgpr_queue_ptr 0
		.amdhsa_user_sgpr_kernarg_segment_ptr 1
		.amdhsa_user_sgpr_dispatch_id 0
		.amdhsa_user_sgpr_flat_scratch_init 0
		.amdhsa_user_sgpr_kernarg_preload_length 0
		.amdhsa_user_sgpr_kernarg_preload_offset 0
		.amdhsa_user_sgpr_private_segment_size 0
		.amdhsa_uses_dynamic_stack 0
		.amdhsa_system_sgpr_private_segment_wavefront_offset 0
		.amdhsa_system_sgpr_workgroup_id_x 1
		.amdhsa_system_sgpr_workgroup_id_y 1
		.amdhsa_system_sgpr_workgroup_id_z 0
		.amdhsa_system_sgpr_workgroup_info 0
		.amdhsa_system_vgpr_workitem_id 1
		.amdhsa_next_free_vgpr 33
		.amdhsa_next_free_sgpr 13
		.amdhsa_accum_offset 36
		.amdhsa_reserve_vcc 1
		.amdhsa_reserve_flat_scratch 0
		.amdhsa_float_round_mode_32 0
		.amdhsa_float_round_mode_16_64 0
		.amdhsa_float_denorm_mode_32 3
		.amdhsa_float_denorm_mode_16_64 3
		.amdhsa_dx10_clamp 1
		.amdhsa_ieee_mode 1
		.amdhsa_fp16_overflow 0
		.amdhsa_tg_split 0
		.amdhsa_exception_fp_ieee_invalid_op 0
		.amdhsa_exception_fp_denorm_src 0
		.amdhsa_exception_fp_ieee_div_zero 0
		.amdhsa_exception_fp_ieee_overflow 0
		.amdhsa_exception_fp_ieee_underflow 0
		.amdhsa_exception_fp_ieee_inexact 0
		.amdhsa_exception_int_div_zero 0
	.end_amdhsa_kernel
	.section	.text._Z19gemv_quantized_int4ILj64EEvP7uint4_2P6__halfS3_jS2_S2_j,"axG",@progbits,_Z19gemv_quantized_int4ILj64EEvP7uint4_2P6__halfS3_jS2_S2_j,comdat
.Lfunc_end3:
	.size	_Z19gemv_quantized_int4ILj64EEvP7uint4_2P6__halfS3_jS2_S2_j, .Lfunc_end3-_Z19gemv_quantized_int4ILj64EEvP7uint4_2P6__halfS3_jS2_S2_j
                                        ; -- End function
	.section	.AMDGPU.csdata,"",@progbits
; Kernel info:
; codeLenInByte = 1788
; NumSgprs: 17
; NumVgprs: 33
; NumAgprs: 0
; TotalNumVgprs: 33
; ScratchSize: 0
; MemoryBound: 0
; FloatMode: 240
; IeeeMode: 1
; LDSByteSize: 16384 bytes/workgroup (compile time only)
; SGPRBlocks: 2
; VGPRBlocks: 4
; NumSGPRsForWavesPerEU: 17
; NumVGPRsForWavesPerEU: 33
; AccumOffset: 36
; Occupancy: 8
; WaveLimiterHint : 0
; COMPUTE_PGM_RSRC2:SCRATCH_EN: 0
; COMPUTE_PGM_RSRC2:USER_SGPR: 6
; COMPUTE_PGM_RSRC2:TRAP_HANDLER: 0
; COMPUTE_PGM_RSRC2:TGID_X_EN: 1
; COMPUTE_PGM_RSRC2:TGID_Y_EN: 1
; COMPUTE_PGM_RSRC2:TGID_Z_EN: 0
; COMPUTE_PGM_RSRC2:TIDIG_COMP_CNT: 1
; COMPUTE_PGM_RSRC3_GFX90A:ACCUM_OFFSET: 8
; COMPUTE_PGM_RSRC3_GFX90A:TG_SPLIT: 0
	.section	.text._Z19gemv_quantized_int4ILj32EEvP7uint4_2P6__halfS3_jS2_S2_j,"axG",@progbits,_Z19gemv_quantized_int4ILj32EEvP7uint4_2P6__halfS3_jS2_S2_j,comdat
	.protected	_Z19gemv_quantized_int4ILj32EEvP7uint4_2P6__halfS3_jS2_S2_j ; -- Begin function _Z19gemv_quantized_int4ILj32EEvP7uint4_2P6__halfS3_jS2_S2_j
	.globl	_Z19gemv_quantized_int4ILj32EEvP7uint4_2P6__halfS3_jS2_S2_j
	.p2align	8
	.type	_Z19gemv_quantized_int4ILj32EEvP7uint4_2P6__halfS3_jS2_S2_j,@function
_Z19gemv_quantized_int4ILj32EEvP7uint4_2P6__halfS3_jS2_S2_j: ; @_Z19gemv_quantized_int4ILj32EEvP7uint4_2P6__halfS3_jS2_S2_j
; %bb.0:
	v_mov_b32_e32 v7, 0
	global_load_dword v5, v7, s[4:5] offset:28
	s_load_dword s6, s[4:5], 0x20
	s_load_dword s12, s[4:5], 0x34
	s_load_dwordx4 s[0:3], s[4:5], 0x0
	s_load_dwordx2 s[8:9], s[4:5], 0x10
	s_add_u32 s10, s4, 40
	s_addc_u32 s11, s5, 0
	s_waitcnt lgkmcnt(0)
	s_lshr_b32 s12, s12, 16
	s_mul_i32 s7, s7, s12
	v_bfe_u32 v4, v0, 10, 10
	v_and_b32_e32 v1, 0x3ff, v0
	s_cmp_lt_u32 s6, 16
	v_add_u32_e32 v0, s7, v4
	s_cbranch_scc1 .LBB4_5
; %bb.1:
	s_load_dword s7, s[10:11], 0xc
	s_load_dword s12, s[4:5], 0x18
	s_waitcnt vmcnt(0)
	v_cvt_f32_f16_sdwa v6, v5 dst_sel:DWORD dst_unused:UNUSED_PAD src0_sel:WORD_1
	v_mov_b32_e32 v3, 0
	s_lshr_b32 s6, s6, 4
	s_waitcnt lgkmcnt(0)
	s_and_b32 s4, s7, 0xffff
	s_lshr_b32 s7, s12, 3
	v_mul_lo_u32 v8, v0, s7
	v_lshlrev_b32_e32 v2, 1, v1
	s_lshl_b32 s12, s4, 1
	v_mov_b32_e32 v7, v3
	s_branch .LBB4_3
.LBB4_2:                                ;   in Loop: Header=BB4_3 Depth=1
	s_or_b64 exec, exec, s[4:5]
	s_add_i32 s6, s6, -1
	s_cmp_eq_u32 s6, 0
	v_add_u32_e32 v2, s12, v2
	s_cbranch_scc1 .LBB4_5
.LBB4_3:                                ; =>This Inner Loop Header: Depth=1
	v_cmp_gt_u32_e32 vcc, s7, v2
	s_and_saveexec_b64 s[4:5], vcc
	s_cbranch_execz .LBB4_2
; %bb.4:                                ;   in Loop: Header=BB4_3 Depth=1
	v_add_u32_e32 v10, v8, v2
	v_mov_b32_e32 v11, v3
	v_lshlrev_b64 v[12:13], 2, v[10:11]
	v_mov_b32_e32 v9, s1
	v_add_co_u32_e32 v12, vcc, s0, v12
	v_add_u32_e32 v10, 1, v10
	v_addc_co_u32_e32 v13, vcc, v9, v13, vcc
	v_lshlrev_b64 v[10:11], 2, v[10:11]
	v_add_co_u32_e32 v10, vcc, s0, v10
	global_load_dword v20, v[12:13], off
	v_addc_co_u32_e32 v11, vcc, v9, v11, vcc
	global_load_dword v9, v[10:11], off
	v_lshlrev_b64 v[10:11], 4, v[2:3]
	v_mov_b32_e32 v12, s3
	v_add_co_u32_e32 v18, vcc, s2, v10
	v_addc_co_u32_e32 v19, vcc, v12, v11, vcc
	global_load_dwordx4 v[10:13], v[18:19], off
	global_load_dwordx4 v[14:17], v[18:19], off offset:16
	s_waitcnt vmcnt(3)
	v_and_b32_e32 v19, 15, v20
	v_lshrrev_b16_e32 v21, 4, v20
	v_lshrrev_b32_e32 v18, 8, v20
	v_cvt_f32_ubyte0_e32 v19, v19
	v_and_b32_e32 v21, 15, v21
	v_bfe_u32 v22, v20, 8, 4
	v_lshrrev_b16_e32 v18, 4, v18
	v_sub_f32_e32 v19, v19, v6
	v_cvt_f32_ubyte0_e32 v21, v21
	v_cvt_f32_ubyte0_e32 v22, v22
	v_and_b32_e32 v18, 15, v18
	s_waitcnt vmcnt(1)
	v_fma_mix_f32 v7, v19, v10, v7 op_sel_hi:[0,1,0]
	v_sub_f32_e32 v19, v21, v6
	v_bfe_u32 v23, v20, 16, 4
	v_sub_f32_e32 v22, v22, v6
	v_cvt_f32_ubyte0_e32 v18, v18
	v_fma_mix_f32 v7, v19, v10, v7 op_sel:[0,1,0] op_sel_hi:[0,1,0]
	v_bfe_u32 v24, v20, 20, 4
	v_cvt_f32_ubyte0_e32 v23, v23
	v_sub_f32_e32 v10, v18, v6
	v_fma_mix_f32 v7, v22, v11, v7 op_sel_hi:[0,1,0]
	v_bfe_u32 v25, v20, 24, 4
	v_cvt_f32_ubyte0_e32 v24, v24
	v_sub_f32_e32 v23, v23, v6
	v_fma_mix_f32 v7, v10, v11, v7 op_sel:[0,1,0] op_sel_hi:[0,1,0]
	v_lshrrev_b32_e32 v20, 28, v20
	v_cvt_f32_ubyte0_e32 v25, v25
	v_sub_f32_e32 v24, v24, v6
	v_fma_mix_f32 v7, v23, v12, v7 op_sel_hi:[0,1,0]
	v_cvt_f32_ubyte0_e32 v20, v20
	v_and_b32_e32 v27, 15, v9
	v_lshrrev_b16_e32 v28, 4, v9
	v_sub_f32_e32 v25, v25, v6
	v_fma_mix_f32 v7, v24, v12, v7 op_sel:[0,1,0] op_sel_hi:[0,1,0]
	v_lshrrev_b32_e32 v26, 8, v9
	v_sub_f32_e32 v20, v20, v6
	v_cvt_f32_ubyte0_e32 v27, v27
	v_and_b32_e32 v28, 15, v28
	v_fma_mix_f32 v7, v25, v13, v7 op_sel_hi:[0,1,0]
	v_bfe_u32 v29, v9, 8, 4
	v_lshrrev_b16_e32 v26, 4, v26
	v_sub_f32_e32 v21, v27, v6
	v_cvt_f32_ubyte0_e32 v27, v28
	v_fma_mix_f32 v7, v20, v13, v7 op_sel:[0,1,0] op_sel_hi:[0,1,0]
	v_cvt_f32_ubyte0_e32 v29, v29
	v_and_b32_e32 v26, 15, v26
	v_sub_f32_e32 v18, v27, v6
	s_waitcnt vmcnt(0)
	v_fma_mix_f32 v7, v21, v14, v7 op_sel_hi:[0,1,0]
	v_bfe_u32 v30, v9, 16, 4
	v_sub_f32_e32 v28, v29, v6
	v_cvt_f32_ubyte0_e32 v19, v26
	v_fma_mix_f32 v7, v18, v14, v7 op_sel:[0,1,0] op_sel_hi:[0,1,0]
	v_bfe_u32 v31, v9, 20, 4
	v_cvt_f32_ubyte0_e32 v30, v30
	v_sub_f32_e32 v19, v19, v6
	v_fma_mix_f32 v7, v28, v15, v7 op_sel_hi:[0,1,0]
	v_bfe_u32 v32, v9, 24, 4
	v_cvt_f32_ubyte0_e32 v31, v31
	v_sub_f32_e32 v29, v30, v6
	v_fma_mix_f32 v7, v19, v15, v7 op_sel:[0,1,0] op_sel_hi:[0,1,0]
	v_lshrrev_b32_e32 v9, 28, v9
	v_cvt_f32_ubyte0_e32 v32, v32
	v_sub_f32_e32 v30, v31, v6
	v_fma_mix_f32 v7, v29, v16, v7 op_sel_hi:[0,1,0]
	v_cvt_f32_ubyte0_e32 v9, v9
	v_sub_f32_e32 v31, v32, v6
	v_fma_mix_f32 v7, v30, v16, v7 op_sel:[0,1,0] op_sel_hi:[0,1,0]
	v_fma_mix_f32 v7, v31, v17, v7 op_sel_hi:[0,1,0]
	v_sub_f32_e32 v9, v9, v6
	v_fma_mix_f32 v7, v9, v17, v7 op_sel:[0,1,0] op_sel_hi:[0,1,0]
	s_branch .LBB4_2
.LBB4_5:
	s_load_dword s0, s[10:11], 0xc
	s_waitcnt vmcnt(0)
	v_cvt_f32_f16_e32 v2, v5
	v_mul_f32_e32 v2, v7, v2
	s_waitcnt lgkmcnt(0)
	s_and_b32 s4, s0, 0xffff
	s_cmp_gt_u32 s4, 63
	s_cselect_b64 s[0:1], -1, 0
	s_cmp_lt_u32 s4, 64
	s_cbranch_scc0 .LBB4_26
; %bb.6:
	s_cmp_lt_u32 s4, 32
	s_cbranch_scc0 .LBB4_27
.LBB4_7:
	s_cmp_lt_u32 s4, 16
	s_cbranch_scc0 .LBB4_28
.LBB4_8:
	s_cmp_lt_u32 s4, 8
	s_cbranch_scc0 .LBB4_29
.LBB4_9:
	s_cmp_lt_u32 s4, 4
	s_cbranch_scc0 .LBB4_30
.LBB4_10:
	s_cmp_lt_u32 s4, 2
	s_cbranch_scc0 .LBB4_31
.LBB4_11:
	s_cmp_gt_u32 s4, 32
	s_cbranch_scc0 .LBB4_32
.LBB4_12:
	v_and_b32_e32 v5, 31, v1
	v_cmp_eq_u32_e32 vcc, 0, v5
	s_and_saveexec_b64 s[2:3], vcc
	s_cbranch_execz .LBB4_14
; %bb.13:
	v_lshrrev_b32_e32 v3, 3, v1
	v_lshl_or_b32 v3, v4, 7, v3
	ds_write_b32 v3, v2
.LBB4_14:
	s_or_b64 exec, exec, s[2:3]
	s_lshr_b32 s2, s4, 5
	v_cmp_gt_u32_e32 vcc, s2, v1
	v_mov_b32_e32 v3, 0
	s_waitcnt lgkmcnt(0)
	s_barrier
	s_and_saveexec_b64 s[2:3], vcc
	s_cbranch_execz .LBB4_16
; %bb.15:
	v_lshlrev_b32_e32 v3, 2, v5
	v_lshl_or_b32 v3, v4, 7, v3
	ds_read_b32 v3, v3
.LBB4_16:
	s_or_b64 exec, exec, s[2:3]
	v_cmp_gt_u32_e32 vcc, 32, v1
	s_and_saveexec_b64 s[2:3], vcc
	s_cbranch_execz .LBB4_24
; %bb.17:
	s_cmpk_lt_u32 s4, 0x800
	v_mbcnt_lo_u32_b32 v4, -1, 0
	s_cbranch_scc0 .LBB4_36
; %bb.18:
	s_cmpk_lt_u32 s4, 0x400
	s_cbranch_scc0 .LBB4_37
.LBB4_19:
	s_cmpk_lt_u32 s4, 0x200
	s_cbranch_scc0 .LBB4_38
.LBB4_20:
	s_cmpk_lt_u32 s4, 0x100
	s_cbranch_scc0 .LBB4_39
.LBB4_21:
	s_cmpk_lt_u32 s4, 0x80
	s_cbranch_scc0 .LBB4_40
.LBB4_22:
	s_andn2_b64 vcc, exec, s[0:1]
	s_cbranch_vccnz .LBB4_24
.LBB4_23:
	v_mbcnt_hi_u32_b32 v4, -1, v4
	v_and_b32_e32 v5, 63, v4
	v_cmp_ne_u32_e32 vcc, 63, v5
	v_addc_co_u32_e32 v4, vcc, 0, v4, vcc
	v_lshlrev_b32_e32 v4, 2, v4
	s_waitcnt lgkmcnt(0)
	ds_bpermute_b32 v4, v4, v3
	s_waitcnt lgkmcnt(0)
	v_add_f32_e32 v3, v3, v4
.LBB4_24:
	s_or_b64 exec, exec, s[2:3]
	v_cmp_eq_u32_e64 s[0:1], 0, v1
.LBB4_25:
	s_waitcnt lgkmcnt(0)
	v_mov_b32_e32 v2, v3
	s_and_saveexec_b64 s[2:3], s[0:1]
	s_cbranch_execnz .LBB4_34
	s_branch .LBB4_35
.LBB4_26:
	v_mbcnt_lo_u32_b32 v3, -1, 0
	v_mbcnt_hi_u32_b32 v3, -1, v3
	v_mov_b32_e32 v5, 0x80
	v_lshl_or_b32 v3, v3, 2, v5
	ds_bpermute_b32 v3, v3, v2
	s_waitcnt lgkmcnt(0)
	v_add_f32_e32 v2, v2, v3
	s_cmp_lt_u32 s4, 32
	s_cbranch_scc1 .LBB4_7
.LBB4_27:
	v_mbcnt_lo_u32_b32 v3, -1, 0
	v_mbcnt_hi_u32_b32 v3, -1, v3
	v_and_b32_e32 v5, 48, v3
	v_cmp_ne_u32_e32 vcc, 48, v5
	v_cndmask_b32_e64 v5, 0, 1, vcc
	v_lshlrev_b32_e32 v5, 4, v5
	v_add_lshl_u32 v3, v5, v3, 2
	ds_bpermute_b32 v3, v3, v2
	s_waitcnt lgkmcnt(0)
	v_add_f32_e32 v2, v2, v3
	s_cmp_lt_u32 s4, 16
	s_cbranch_scc1 .LBB4_8
.LBB4_28:
	v_mbcnt_lo_u32_b32 v3, -1, 0
	v_mbcnt_hi_u32_b32 v3, -1, v3
	v_and_b32_e32 v5, 56, v3
	v_cmp_ne_u32_e32 vcc, 56, v5
	v_cndmask_b32_e64 v5, 0, 1, vcc
	v_lshlrev_b32_e32 v5, 3, v5
	v_add_lshl_u32 v3, v5, v3, 2
	ds_bpermute_b32 v3, v3, v2
	s_waitcnt lgkmcnt(0)
	v_add_f32_e32 v2, v2, v3
	s_cmp_lt_u32 s4, 8
	s_cbranch_scc1 .LBB4_9
.LBB4_29:
	v_mbcnt_lo_u32_b32 v3, -1, 0
	v_mbcnt_hi_u32_b32 v3, -1, v3
	v_and_b32_e32 v5, 60, v3
	v_cmp_ne_u32_e32 vcc, 60, v5
	v_cndmask_b32_e64 v5, 0, 1, vcc
	v_lshlrev_b32_e32 v5, 2, v5
	v_add_lshl_u32 v3, v5, v3, 2
	ds_bpermute_b32 v3, v3, v2
	s_waitcnt lgkmcnt(0)
	v_add_f32_e32 v2, v2, v3
	s_cmp_lt_u32 s4, 4
	s_cbranch_scc1 .LBB4_10
.LBB4_30:
	v_mbcnt_lo_u32_b32 v3, -1, 0
	v_mbcnt_hi_u32_b32 v3, -1, v3
	v_and_b32_e32 v5, 62, v3
	v_cmp_ne_u32_e32 vcc, 62, v5
	v_cndmask_b32_e64 v5, 0, 1, vcc
	v_lshlrev_b32_e32 v5, 1, v5
	v_add_lshl_u32 v3, v5, v3, 2
	ds_bpermute_b32 v3, v3, v2
	s_waitcnt lgkmcnt(0)
	v_add_f32_e32 v2, v2, v3
	s_cmp_lt_u32 s4, 2
	s_cbranch_scc1 .LBB4_11
.LBB4_31:
	v_mbcnt_lo_u32_b32 v3, -1, 0
	v_mbcnt_hi_u32_b32 v3, -1, v3
	v_and_b32_e32 v5, 63, v3
	v_cmp_ne_u32_e32 vcc, 63, v5
	v_addc_co_u32_e32 v3, vcc, 0, v3, vcc
	v_lshlrev_b32_e32 v3, 2, v3
	ds_bpermute_b32 v3, v3, v2
	s_waitcnt lgkmcnt(0)
	v_add_f32_e32 v2, v2, v3
	s_cmp_gt_u32 s4, 32
	s_cbranch_scc1 .LBB4_12
.LBB4_32:
	s_mov_b64 s[0:1], 0
                                        ; implicit-def: $vgpr3
	s_cbranch_execz .LBB4_25
; %bb.33:
	v_cmp_eq_u32_e32 vcc, 0, v1
	s_andn2_b64 s[0:1], s[0:1], exec
	s_and_b64 s[2:3], vcc, exec
	s_or_b64 s[0:1], s[0:1], s[2:3]
	s_and_saveexec_b64 s[2:3], s[0:1]
	s_cbranch_execz .LBB4_35
.LBB4_34:
	v_mov_b32_e32 v1, 0
	v_cvt_f16_f32_e32 v2, v2
	v_lshlrev_b64 v[0:1], 1, v[0:1]
	s_waitcnt lgkmcnt(0)
	v_mov_b32_e32 v3, s9
	v_add_co_u32_e32 v0, vcc, s8, v0
	v_addc_co_u32_e32 v1, vcc, v3, v1, vcc
	global_store_short v[0:1], v2, off
.LBB4_35:
	s_endpgm
.LBB4_36:
	v_mbcnt_hi_u32_b32 v5, -1, v4
	v_mov_b32_e32 v6, 0x80
	v_lshl_or_b32 v5, v5, 2, v6
	s_waitcnt lgkmcnt(0)
	ds_bpermute_b32 v5, v5, v3
	s_waitcnt lgkmcnt(0)
	v_add_f32_e32 v3, v3, v5
	s_cmpk_lt_u32 s4, 0x400
	s_cbranch_scc1 .LBB4_19
.LBB4_37:
	v_mbcnt_hi_u32_b32 v5, -1, v4
	v_and_b32_e32 v6, 48, v5
	v_cmp_ne_u32_e32 vcc, 48, v6
	v_cndmask_b32_e64 v6, 0, 1, vcc
	v_lshlrev_b32_e32 v6, 4, v6
	v_add_lshl_u32 v5, v6, v5, 2
	s_waitcnt lgkmcnt(0)
	ds_bpermute_b32 v5, v5, v3
	s_waitcnt lgkmcnt(0)
	v_add_f32_e32 v3, v3, v5
	s_cmpk_lt_u32 s4, 0x200
	s_cbranch_scc1 .LBB4_20
.LBB4_38:
	v_mbcnt_hi_u32_b32 v5, -1, v4
	v_and_b32_e32 v6, 56, v5
	v_cmp_ne_u32_e32 vcc, 56, v6
	v_cndmask_b32_e64 v6, 0, 1, vcc
	v_lshlrev_b32_e32 v6, 3, v6
	v_add_lshl_u32 v5, v6, v5, 2
	s_waitcnt lgkmcnt(0)
	ds_bpermute_b32 v5, v5, v3
	s_waitcnt lgkmcnt(0)
	v_add_f32_e32 v3, v3, v5
	s_cmpk_lt_u32 s4, 0x100
	s_cbranch_scc1 .LBB4_21
.LBB4_39:
	v_mbcnt_hi_u32_b32 v5, -1, v4
	v_and_b32_e32 v6, 60, v5
	v_cmp_ne_u32_e32 vcc, 60, v6
	v_cndmask_b32_e64 v6, 0, 1, vcc
	v_lshlrev_b32_e32 v6, 2, v6
	v_add_lshl_u32 v5, v6, v5, 2
	s_waitcnt lgkmcnt(0)
	ds_bpermute_b32 v5, v5, v3
	s_waitcnt lgkmcnt(0)
	v_add_f32_e32 v3, v3, v5
	s_cmpk_lt_u32 s4, 0x80
	s_cbranch_scc1 .LBB4_22
.LBB4_40:
	v_mbcnt_hi_u32_b32 v5, -1, v4
	v_and_b32_e32 v6, 62, v5
	v_cmp_ne_u32_e32 vcc, 62, v6
	v_cndmask_b32_e64 v6, 0, 1, vcc
	v_lshlrev_b32_e32 v6, 1, v6
	v_add_lshl_u32 v5, v6, v5, 2
	s_waitcnt lgkmcnt(0)
	ds_bpermute_b32 v5, v5, v3
	s_waitcnt lgkmcnt(0)
	v_add_f32_e32 v3, v3, v5
	s_andn2_b64 vcc, exec, s[0:1]
	s_cbranch_vccz .LBB4_23
	s_branch .LBB4_24
	.section	.rodata,"a",@progbits
	.p2align	6, 0x0
	.amdhsa_kernel _Z19gemv_quantized_int4ILj32EEvP7uint4_2P6__halfS3_jS2_S2_j
		.amdhsa_group_segment_fixed_size 8192
		.amdhsa_private_segment_fixed_size 0
		.amdhsa_kernarg_size 296
		.amdhsa_user_sgpr_count 6
		.amdhsa_user_sgpr_private_segment_buffer 1
		.amdhsa_user_sgpr_dispatch_ptr 0
		.amdhsa_user_sgpr_queue_ptr 0
		.amdhsa_user_sgpr_kernarg_segment_ptr 1
		.amdhsa_user_sgpr_dispatch_id 0
		.amdhsa_user_sgpr_flat_scratch_init 0
		.amdhsa_user_sgpr_kernarg_preload_length 0
		.amdhsa_user_sgpr_kernarg_preload_offset 0
		.amdhsa_user_sgpr_private_segment_size 0
		.amdhsa_uses_dynamic_stack 0
		.amdhsa_system_sgpr_private_segment_wavefront_offset 0
		.amdhsa_system_sgpr_workgroup_id_x 1
		.amdhsa_system_sgpr_workgroup_id_y 1
		.amdhsa_system_sgpr_workgroup_id_z 0
		.amdhsa_system_sgpr_workgroup_info 0
		.amdhsa_system_vgpr_workitem_id 1
		.amdhsa_next_free_vgpr 33
		.amdhsa_next_free_sgpr 13
		.amdhsa_accum_offset 36
		.amdhsa_reserve_vcc 1
		.amdhsa_reserve_flat_scratch 0
		.amdhsa_float_round_mode_32 0
		.amdhsa_float_round_mode_16_64 0
		.amdhsa_float_denorm_mode_32 3
		.amdhsa_float_denorm_mode_16_64 3
		.amdhsa_dx10_clamp 1
		.amdhsa_ieee_mode 1
		.amdhsa_fp16_overflow 0
		.amdhsa_tg_split 0
		.amdhsa_exception_fp_ieee_invalid_op 0
		.amdhsa_exception_fp_denorm_src 0
		.amdhsa_exception_fp_ieee_div_zero 0
		.amdhsa_exception_fp_ieee_overflow 0
		.amdhsa_exception_fp_ieee_underflow 0
		.amdhsa_exception_fp_ieee_inexact 0
		.amdhsa_exception_int_div_zero 0
	.end_amdhsa_kernel
	.section	.text._Z19gemv_quantized_int4ILj32EEvP7uint4_2P6__halfS3_jS2_S2_j,"axG",@progbits,_Z19gemv_quantized_int4ILj32EEvP7uint4_2P6__halfS3_jS2_S2_j,comdat
.Lfunc_end4:
	.size	_Z19gemv_quantized_int4ILj32EEvP7uint4_2P6__halfS3_jS2_S2_j, .Lfunc_end4-_Z19gemv_quantized_int4ILj32EEvP7uint4_2P6__halfS3_jS2_S2_j
                                        ; -- End function
	.section	.AMDGPU.csdata,"",@progbits
; Kernel info:
; codeLenInByte = 1796
; NumSgprs: 17
; NumVgprs: 33
; NumAgprs: 0
; TotalNumVgprs: 33
; ScratchSize: 0
; MemoryBound: 0
; FloatMode: 240
; IeeeMode: 1
; LDSByteSize: 8192 bytes/workgroup (compile time only)
; SGPRBlocks: 2
; VGPRBlocks: 4
; NumSGPRsForWavesPerEU: 17
; NumVGPRsForWavesPerEU: 33
; AccumOffset: 36
; Occupancy: 8
; WaveLimiterHint : 0
; COMPUTE_PGM_RSRC2:SCRATCH_EN: 0
; COMPUTE_PGM_RSRC2:USER_SGPR: 6
; COMPUTE_PGM_RSRC2:TRAP_HANDLER: 0
; COMPUTE_PGM_RSRC2:TGID_X_EN: 1
; COMPUTE_PGM_RSRC2:TGID_Y_EN: 1
; COMPUTE_PGM_RSRC2:TGID_Z_EN: 0
; COMPUTE_PGM_RSRC2:TIDIG_COMP_CNT: 1
; COMPUTE_PGM_RSRC3_GFX90A:ACCUM_OFFSET: 8
; COMPUTE_PGM_RSRC3_GFX90A:TG_SPLIT: 0
	.section	.text._Z19gemv_quantized_int8ILj64EEvPaP6__halfS2_jS1_S1_j,"axG",@progbits,_Z19gemv_quantized_int8ILj64EEvPaP6__halfS2_jS1_S1_j,comdat
	.protected	_Z19gemv_quantized_int8ILj64EEvPaP6__halfS2_jS1_S1_j ; -- Begin function _Z19gemv_quantized_int8ILj64EEvPaP6__halfS2_jS1_S1_j
	.globl	_Z19gemv_quantized_int8ILj64EEvPaP6__halfS2_jS1_S1_j
	.p2align	8
	.type	_Z19gemv_quantized_int8ILj64EEvPaP6__halfS2_jS1_S1_j,@function
_Z19gemv_quantized_int8ILj64EEvPaP6__halfS2_jS1_S1_j: ; @_Z19gemv_quantized_int8ILj64EEvPaP6__halfS2_jS1_S1_j
; %bb.0:
	s_load_dword s6, s[4:5], 0x34
	s_load_dwordx2 s[10:11], s[4:5], 0x1c
	s_load_dwordx4 s[0:3], s[4:5], 0x0
	s_load_dwordx2 s[8:9], s[4:5], 0x10
	v_bfe_u32 v8, v0, 10, 10
	s_waitcnt lgkmcnt(0)
	s_lshr_b32 s12, s6, 16
	s_mul_i32 s7, s7, s12
	s_and_b32 s6, s6, 0xffff
	v_and_b32_e32 v1, 0x3ff, v0
	s_cmp_gt_u32 s11, 7
	v_add_u32_e32 v0, s7, v8
	s_cbranch_scc0 .LBB5_8
; %bb.1:
	s_load_dword s5, s[4:5], 0x18
	s_lshr_b32 s7, s10, 16
	v_cvt_f32_f16_e32 v2, s7
	s_lshr_b32 s4, s11, 3
	s_waitcnt lgkmcnt(0)
	s_lshr_b32 s7, s5, 3
	v_mul_lo_u32 v10, v0, s7
	s_cmp_eq_u32 s4, 1
	v_mov_b32_e32 v3, v2
	s_cbranch_scc1 .LBB5_9
; %bb.2:
	v_mov_b32_e32 v5, 0
	s_and_b32 s12, s4, 0x1ffffffe
	s_lshl_b32 s13, s6, 1
	v_add_u32_e32 v11, s6, v10
	s_mov_b32 s14, 0
	v_mov_b32_e32 v4, v1
	v_mov_b32_e32 v9, v5
	s_branch .LBB5_4
.LBB5_3:                                ;   in Loop: Header=BB5_4 Depth=1
	s_or_b64 exec, exec, s[4:5]
	s_add_i32 s14, s14, 2
	s_cmp_eq_u32 s12, s14
	v_add_u32_e32 v4, s13, v4
	s_cbranch_scc1 .LBB5_10
.LBB5_4:                                ; =>This Inner Loop Header: Depth=1
	v_cmp_gt_u32_e32 vcc, s7, v4
	s_and_saveexec_b64 s[4:5], vcc
	s_cbranch_execz .LBB5_6
; %bb.5:                                ;   in Loop: Header=BB5_4 Depth=1
	v_lshlrev_b64 v[6:7], 4, v[4:5]
	v_mov_b32_e32 v12, s3
	v_add_co_u32_e32 v6, vcc, s2, v6
	v_addc_co_u32_e32 v7, vcc, v12, v7, vcc
	v_add_u32_e32 v16, v10, v4
	v_mov_b32_e32 v17, v5
	global_load_dwordx4 v[12:15], v[6:7], off
	v_lshlrev_b64 v[6:7], 3, v[16:17]
	v_mov_b32_e32 v16, s1
	v_add_co_u32_e32 v6, vcc, s0, v6
	v_addc_co_u32_e32 v7, vcc, v16, v7, vcc
	global_load_dwordx2 v[6:7], v[6:7], off
	s_waitcnt vmcnt(1)
	v_cvt_f32_f16_e32 v16, v12
	v_cvt_f32_f16_sdwa v17, v12 dst_sel:DWORD dst_unused:UNUSED_PAD src0_sel:WORD_1
	v_cvt_f32_f16_e32 v12, v13
	v_cvt_f32_f16_sdwa v13, v13 dst_sel:DWORD dst_unused:UNUSED_PAD src0_sel:WORD_1
	;; [unrolled: 2-line block ×3, first 2 shown]
	v_cvt_f32_f16_e32 v14, v15
	s_waitcnt vmcnt(0)
	v_lshrrev_b32_e32 v20, 8, v6
	v_bfe_i32 v21, v6, 0, 8
	v_lshrrev_b32_e32 v22, 16, v6
	v_lshrrev_b32_e32 v6, 24, v6
	;; [unrolled: 1-line block ×3, first 2 shown]
	v_bfe_i32 v24, v7, 0, 8
	v_lshrrev_b32_e32 v25, 16, v7
	v_lshrrev_b32_e32 v7, 24, v7
	v_bfe_i32 v26, v20, 0, 8
	v_bfe_i32 v27, v6, 0, 8
	v_bfe_i32 v29, v25, 0, 8
	v_bfe_i32 v25, v7, 0, 8
	v_cvt_f32_i32_sdwa v6, sext(v21) dst_sel:DWORD dst_unused:UNUSED_PAD src0_sel:WORD_0
	v_cvt_f32_i32_sdwa v7, sext(v26) dst_sel:DWORD dst_unused:UNUSED_PAD src0_sel:WORD_0
	v_bfe_i32 v22, v22, 0, 8
	v_bfe_i32 v28, v23, 0, 8
	v_cvt_f32_i32_sdwa v23, sext(v27) dst_sel:DWORD dst_unused:UNUSED_PAD src0_sel:WORD_0
	v_cvt_f32_i32_sdwa v22, sext(v22) dst_sel:DWORD dst_unused:UNUSED_PAD src0_sel:WORD_0
	;; [unrolled: 1-line block ×4, first 2 shown]
	v_pk_add_f32 v[6:7], v[6:7], v[2:3] neg_lo:[0,1] neg_hi:[0,1]
	v_pk_mul_f32 v[6:7], v[6:7], v[16:17]
	v_cvt_f32_i32_sdwa v25, sext(v25) dst_sel:DWORD dst_unused:UNUSED_PAD src0_sel:WORD_0
	v_cvt_f32_i32_sdwa v24, sext(v29) dst_sel:DWORD dst_unused:UNUSED_PAD src0_sel:WORD_0
	v_pk_add_f32 v[22:23], v[22:23], v[2:3] neg_lo:[0,1] neg_hi:[0,1]
	v_add_f32_e32 v6, v9, v6
	v_cvt_f32_f16_sdwa v15, v15 dst_sel:DWORD dst_unused:UNUSED_PAD src0_sel:WORD_1
	v_pk_mul_f32 v[12:13], v[22:23], v[12:13]
	v_add_f32_e32 v6, v6, v7
	v_pk_add_f32 v[20:21], v[20:21], v[2:3] neg_lo:[0,1] neg_hi:[0,1]
	v_add_f32_e32 v6, v6, v12
	v_pk_mul_f32 v[16:17], v[20:21], v[18:19]
	v_add_f32_e32 v6, v6, v13
	v_pk_add_f32 v[24:25], v[24:25], v[2:3] neg_lo:[0,1] neg_hi:[0,1]
	v_add_f32_e32 v6, v6, v16
	v_add_f32_e32 v9, v6, v17
	v_pk_mul_f32 v[6:7], v[24:25], v[14:15]
	v_add_f32_e32 v6, v9, v6
	v_add_f32_e32 v9, v6, v7
.LBB5_6:                                ;   in Loop: Header=BB5_4 Depth=1
	s_or_b64 exec, exec, s[4:5]
	v_add_u32_e32 v6, s6, v4
	v_cmp_gt_u32_e32 vcc, s7, v6
	s_and_saveexec_b64 s[4:5], vcc
	s_cbranch_execz .LBB5_3
; %bb.7:                                ;   in Loop: Header=BB5_4 Depth=1
	v_add_u32_e32 v12, v11, v4
	v_mov_b32_e32 v13, v5
	v_lshlrev_b64 v[12:13], 3, v[12:13]
	v_mov_b32_e32 v7, s1
	v_add_co_u32_e32 v12, vcc, s0, v12
	v_addc_co_u32_e32 v13, vcc, v7, v13, vcc
	v_mov_b32_e32 v7, v5
	global_load_dwordx2 v[16:17], v[12:13], off
	v_lshlrev_b64 v[6:7], 4, v[6:7]
	v_mov_b32_e32 v12, s3
	v_add_co_u32_e32 v6, vcc, s2, v6
	v_addc_co_u32_e32 v7, vcc, v12, v7, vcc
	global_load_dwordx4 v[12:15], v[6:7], off
	s_waitcnt vmcnt(1)
	v_lshrrev_b32_e32 v18, 8, v16
	v_bfe_i32 v19, v16, 0, 8
	v_bfe_i32 v26, v18, 0, 8
	v_lshrrev_b32_e32 v20, 16, v16
	v_lshrrev_b32_e32 v21, 24, v16
	v_cvt_f32_i32_sdwa v18, sext(v19) dst_sel:DWORD dst_unused:UNUSED_PAD src0_sel:WORD_0
	v_cvt_f32_i32_sdwa v19, sext(v26) dst_sel:DWORD dst_unused:UNUSED_PAD src0_sel:WORD_0
	v_lshrrev_b32_e32 v22, 8, v17
	v_bfe_i32 v23, v17, 0, 8
	s_waitcnt vmcnt(0)
	v_cvt_f32_f16_e32 v6, v12
	v_cvt_f32_f16_sdwa v7, v12 dst_sel:DWORD dst_unused:UNUSED_PAD src0_sel:WORD_1
	v_bfe_i32 v27, v20, 0, 8
	v_bfe_i32 v21, v21, 0, 8
	;; [unrolled: 1-line block ×3, first 2 shown]
	v_cvt_f32_i32_sdwa v20, sext(v23) dst_sel:DWORD dst_unused:UNUSED_PAD src0_sel:WORD_0
	v_cvt_f32_i32_sdwa v23, sext(v21) dst_sel:DWORD dst_unused:UNUSED_PAD src0_sel:WORD_0
	;; [unrolled: 1-line block ×3, first 2 shown]
	v_cvt_f32_f16_e32 v12, v13
	v_cvt_f32_f16_sdwa v13, v13 dst_sel:DWORD dst_unused:UNUSED_PAD src0_sel:WORD_1
	v_lshrrev_b32_e32 v24, 16, v17
	v_lshrrev_b32_e32 v25, 24, v17
	v_cvt_f32_i32_sdwa v21, sext(v28) dst_sel:DWORD dst_unused:UNUSED_PAD src0_sel:WORD_0
	v_pk_add_f32 v[18:19], v[18:19], v[2:3] neg_lo:[0,1] neg_hi:[0,1]
	v_cvt_f32_f16_e32 v16, v14
	v_cvt_f32_f16_sdwa v17, v14 dst_sel:DWORD dst_unused:UNUSED_PAD src0_sel:WORD_1
	v_bfe_i32 v24, v24, 0, 8
	v_bfe_i32 v25, v25, 0, 8
	v_pk_mul_f32 v[6:7], v[18:19], v[6:7]
	v_cvt_f32_i32_sdwa v25, sext(v25) dst_sel:DWORD dst_unused:UNUSED_PAD src0_sel:WORD_0
	v_cvt_f32_i32_sdwa v24, sext(v24) dst_sel:DWORD dst_unused:UNUSED_PAD src0_sel:WORD_0
	v_pk_add_f32 v[22:23], v[22:23], v[2:3] neg_lo:[0,1] neg_hi:[0,1]
	v_add_f32_e32 v6, v9, v6
	v_cvt_f32_f16_e32 v14, v15
	v_cvt_f32_f16_sdwa v15, v15 dst_sel:DWORD dst_unused:UNUSED_PAD src0_sel:WORD_1
	v_pk_mul_f32 v[12:13], v[22:23], v[12:13]
	v_add_f32_e32 v6, v6, v7
	v_pk_add_f32 v[20:21], v[20:21], v[2:3] neg_lo:[0,1] neg_hi:[0,1]
	v_add_f32_e32 v6, v6, v12
	v_pk_mul_f32 v[16:17], v[20:21], v[16:17]
	v_add_f32_e32 v6, v6, v13
	v_pk_add_f32 v[24:25], v[24:25], v[2:3] neg_lo:[0,1] neg_hi:[0,1]
	v_add_f32_e32 v6, v6, v16
	v_add_f32_e32 v9, v6, v17
	v_pk_mul_f32 v[6:7], v[24:25], v[14:15]
	v_add_f32_e32 v6, v9, v6
	v_add_f32_e32 v9, v6, v7
	s_branch .LBB5_3
.LBB5_8:
                                        ; implicit-def: $vgpr9
	s_cbranch_execnz .LBB5_15
	s_branch .LBB5_16
.LBB5_9:
	s_mov_b32 s12, 0
	v_mov_b32_e32 v9, 0
.LBB5_10:
	s_bitcmp0_b32 s11, 3
	s_cbranch_scc1 .LBB5_14
; %bb.11:
	s_mul_i32 s4, s12, s6
	v_add_u32_e32 v4, s4, v1
	v_cmp_gt_u32_e32 vcc, s7, v4
	s_and_saveexec_b64 s[4:5], vcc
	s_cbranch_execz .LBB5_13
; %bb.12:
	v_mov_b32_e32 v5, 0
	v_lshlrev_b64 v[6:7], 4, v[4:5]
	v_mov_b32_e32 v11, s3
	v_add_co_u32_e32 v6, vcc, s2, v6
	v_add_u32_e32 v4, v4, v10
	v_addc_co_u32_e32 v7, vcc, v11, v7, vcc
	v_lshlrev_b64 v[4:5], 3, v[4:5]
	global_load_dwordx4 v[12:15], v[6:7], off
	v_mov_b32_e32 v6, s1
	v_add_co_u32_e32 v4, vcc, s0, v4
	v_addc_co_u32_e32 v5, vcc, v6, v5, vcc
	global_load_dwordx2 v[4:5], v[4:5], off
	s_waitcnt vmcnt(1)
	v_cvt_f32_f16_e32 v6, v12
	v_cvt_f32_f16_sdwa v7, v12 dst_sel:DWORD dst_unused:UNUSED_PAD src0_sel:WORD_1
	v_cvt_f32_f16_e32 v10, v13
	v_cvt_f32_f16_sdwa v11, v13 dst_sel:DWORD dst_unused:UNUSED_PAD src0_sel:WORD_1
	v_cvt_f32_f16_e32 v12, v14
	v_cvt_f32_f16_sdwa v13, v14 dst_sel:DWORD dst_unused:UNUSED_PAD src0_sel:WORD_1
	s_waitcnt vmcnt(0)
	v_lshrrev_b32_e32 v16, 8, v4
	v_bfe_i32 v17, v4, 0, 8
	v_lshrrev_b32_e32 v18, 16, v4
	v_lshrrev_b32_e32 v4, 24, v4
	;; [unrolled: 1-line block ×3, first 2 shown]
	v_bfe_i32 v20, v5, 0, 8
	v_lshrrev_b32_e32 v21, 16, v5
	v_lshrrev_b32_e32 v5, 24, v5
	v_bfe_i32 v22, v16, 0, 8
	v_bfe_i32 v23, v4, 0, 8
	;; [unrolled: 1-line block ×4, first 2 shown]
	v_cvt_f32_i32_sdwa v4, sext(v17) dst_sel:DWORD dst_unused:UNUSED_PAD src0_sel:WORD_0
	v_cvt_f32_i32_sdwa v5, sext(v22) dst_sel:DWORD dst_unused:UNUSED_PAD src0_sel:WORD_0
	v_bfe_i32 v18, v18, 0, 8
	v_bfe_i32 v24, v19, 0, 8
	v_cvt_f32_i32_sdwa v19, sext(v23) dst_sel:DWORD dst_unused:UNUSED_PAD src0_sel:WORD_0
	v_cvt_f32_i32_sdwa v18, sext(v18) dst_sel:DWORD dst_unused:UNUSED_PAD src0_sel:WORD_0
	;; [unrolled: 1-line block ×4, first 2 shown]
	v_pk_add_f32 v[4:5], v[4:5], v[2:3] neg_lo:[0,1] neg_hi:[0,1]
	v_pk_mul_f32 v[4:5], v[4:5], v[6:7]
	v_cvt_f32_i32_sdwa v21, sext(v21) dst_sel:DWORD dst_unused:UNUSED_PAD src0_sel:WORD_0
	v_cvt_f32_i32_sdwa v20, sext(v25) dst_sel:DWORD dst_unused:UNUSED_PAD src0_sel:WORD_0
	v_pk_add_f32 v[18:19], v[18:19], v[2:3] neg_lo:[0,1] neg_hi:[0,1]
	v_add_f32_e32 v4, v9, v4
	v_cvt_f32_f16_e32 v14, v15
	v_cvt_f32_f16_sdwa v15, v15 dst_sel:DWORD dst_unused:UNUSED_PAD src0_sel:WORD_1
	v_pk_mul_f32 v[6:7], v[18:19], v[10:11]
	v_add_f32_e32 v4, v4, v5
	v_pk_add_f32 v[16:17], v[16:17], v[2:3] neg_lo:[0,1] neg_hi:[0,1]
	v_add_f32_e32 v4, v4, v6
	v_pk_mul_f32 v[10:11], v[16:17], v[12:13]
	v_add_f32_e32 v4, v4, v7
	v_pk_add_f32 v[2:3], v[20:21], v[2:3] neg_lo:[0,1] neg_hi:[0,1]
	v_add_f32_e32 v4, v4, v10
	v_add_f32_e32 v4, v4, v11
	v_pk_mul_f32 v[2:3], v[2:3], v[14:15]
	v_add_f32_e32 v2, v4, v2
	v_add_f32_e32 v9, v2, v3
.LBB5_13:
	s_or_b64 exec, exec, s[4:5]
.LBB5_14:
	s_branch .LBB5_16
.LBB5_15:
	v_mov_b32_e32 v9, 0
.LBB5_16:
	v_cvt_f32_f16_e32 v2, s10
	s_cmp_lt_u32 s6, 64
	v_mul_f32_e32 v2, v9, v2
	s_cbranch_scc0 .LBB5_37
; %bb.17:
	s_cmp_lt_u32 s6, 32
	s_cbranch_scc0 .LBB5_38
.LBB5_18:
	s_cmp_lt_u32 s6, 16
	s_cbranch_scc0 .LBB5_39
.LBB5_19:
	s_cmp_lt_u32 s6, 8
	s_cbranch_scc0 .LBB5_40
.LBB5_20:
	s_cmp_lt_u32 s6, 4
	s_cbranch_scc0 .LBB5_41
.LBB5_21:
	s_cmp_lt_u32 s6, 2
	s_cbranch_scc0 .LBB5_42
.LBB5_22:
	s_cmp_gt_u32 s6, 64
	s_cbranch_scc0 .LBB5_43
.LBB5_23:
	v_and_b32_e32 v4, 63, v1
	v_cmp_eq_u32_e32 vcc, 0, v4
	s_and_saveexec_b64 s[0:1], vcc
	s_cbranch_execz .LBB5_25
; %bb.24:
	v_lshrrev_b32_e32 v3, 4, v1
	v_lshl_or_b32 v3, v8, 8, v3
	ds_write_b32 v3, v2
.LBB5_25:
	s_or_b64 exec, exec, s[0:1]
	s_bfe_u32 s0, s6, 0x100006
	v_cmp_gt_u32_e32 vcc, s0, v1
	v_mov_b32_e32 v3, 0
	s_waitcnt lgkmcnt(0)
	s_barrier
	s_and_saveexec_b64 s[0:1], vcc
	s_cbranch_execz .LBB5_27
; %bb.26:
	v_lshlrev_b32_e32 v3, 2, v4
	v_lshl_or_b32 v3, v8, 8, v3
	ds_read_b32 v3, v3
.LBB5_27:
	s_or_b64 exec, exec, s[0:1]
	v_cmp_gt_u32_e32 vcc, 64, v1
	s_and_saveexec_b64 s[0:1], vcc
	s_cbranch_execz .LBB5_35
; %bb.28:
	s_cmpk_lt_u32 s6, 0x1000
	v_mbcnt_lo_u32_b32 v4, -1, 0
	s_cbranch_scc0 .LBB5_47
; %bb.29:
	s_cmpk_lt_u32 s6, 0x800
	s_cbranch_scc0 .LBB5_48
.LBB5_30:
	s_cmpk_lt_u32 s6, 0x400
	s_cbranch_scc0 .LBB5_49
.LBB5_31:
	s_cmpk_lt_u32 s6, 0x200
	s_cbranch_scc0 .LBB5_50
.LBB5_32:
	s_cmpk_lt_u32 s6, 0x100
	s_cbranch_scc0 .LBB5_51
.LBB5_33:
	s_cmpk_lt_u32 s6, 0x80
	s_cbranch_scc1 .LBB5_35
.LBB5_34:
	v_mbcnt_hi_u32_b32 v4, -1, v4
	v_and_b32_e32 v5, 63, v4
	v_cmp_ne_u32_e32 vcc, 63, v5
	v_addc_co_u32_e32 v4, vcc, 0, v4, vcc
	v_lshlrev_b32_e32 v4, 2, v4
	s_waitcnt lgkmcnt(0)
	ds_bpermute_b32 v4, v4, v3
	s_waitcnt lgkmcnt(0)
	v_add_f32_e32 v3, v3, v4
.LBB5_35:
	s_or_b64 exec, exec, s[0:1]
	v_cmp_eq_u32_e64 s[0:1], 0, v1
.LBB5_36:
	s_waitcnt lgkmcnt(0)
	v_mov_b32_e32 v2, v3
	s_and_saveexec_b64 s[2:3], s[0:1]
	s_cbranch_execnz .LBB5_45
	s_branch .LBB5_46
.LBB5_37:
	v_mbcnt_lo_u32_b32 v3, -1, 0
	v_mbcnt_hi_u32_b32 v3, -1, v3
	v_mov_b32_e32 v4, 0x80
	v_lshl_or_b32 v3, v3, 2, v4
	ds_bpermute_b32 v3, v3, v2
	s_waitcnt lgkmcnt(0)
	v_add_f32_e32 v2, v2, v3
	s_cmp_lt_u32 s6, 32
	s_cbranch_scc1 .LBB5_18
.LBB5_38:
	v_mbcnt_lo_u32_b32 v3, -1, 0
	v_mbcnt_hi_u32_b32 v3, -1, v3
	v_and_b32_e32 v4, 48, v3
	v_cmp_ne_u32_e32 vcc, 48, v4
	v_cndmask_b32_e64 v4, 0, 1, vcc
	v_lshlrev_b32_e32 v4, 4, v4
	v_add_lshl_u32 v3, v4, v3, 2
	ds_bpermute_b32 v3, v3, v2
	s_waitcnt lgkmcnt(0)
	v_add_f32_e32 v2, v2, v3
	s_cmp_lt_u32 s6, 16
	s_cbranch_scc1 .LBB5_19
.LBB5_39:
	v_mbcnt_lo_u32_b32 v3, -1, 0
	v_mbcnt_hi_u32_b32 v3, -1, v3
	v_and_b32_e32 v4, 56, v3
	v_cmp_ne_u32_e32 vcc, 56, v4
	v_cndmask_b32_e64 v4, 0, 1, vcc
	v_lshlrev_b32_e32 v4, 3, v4
	v_add_lshl_u32 v3, v4, v3, 2
	ds_bpermute_b32 v3, v3, v2
	s_waitcnt lgkmcnt(0)
	v_add_f32_e32 v2, v2, v3
	s_cmp_lt_u32 s6, 8
	s_cbranch_scc1 .LBB5_20
.LBB5_40:
	v_mbcnt_lo_u32_b32 v3, -1, 0
	v_mbcnt_hi_u32_b32 v3, -1, v3
	v_and_b32_e32 v4, 60, v3
	v_cmp_ne_u32_e32 vcc, 60, v4
	v_cndmask_b32_e64 v4, 0, 1, vcc
	v_lshlrev_b32_e32 v4, 2, v4
	v_add_lshl_u32 v3, v4, v3, 2
	ds_bpermute_b32 v3, v3, v2
	s_waitcnt lgkmcnt(0)
	v_add_f32_e32 v2, v2, v3
	s_cmp_lt_u32 s6, 4
	s_cbranch_scc1 .LBB5_21
.LBB5_41:
	v_mbcnt_lo_u32_b32 v3, -1, 0
	v_mbcnt_hi_u32_b32 v3, -1, v3
	v_and_b32_e32 v4, 62, v3
	v_cmp_ne_u32_e32 vcc, 62, v4
	v_cndmask_b32_e64 v4, 0, 1, vcc
	v_lshlrev_b32_e32 v4, 1, v4
	v_add_lshl_u32 v3, v4, v3, 2
	ds_bpermute_b32 v3, v3, v2
	s_waitcnt lgkmcnt(0)
	v_add_f32_e32 v2, v2, v3
	s_cmp_lt_u32 s6, 2
	s_cbranch_scc1 .LBB5_22
.LBB5_42:
	v_mbcnt_lo_u32_b32 v3, -1, 0
	v_mbcnt_hi_u32_b32 v3, -1, v3
	v_and_b32_e32 v4, 63, v3
	v_cmp_ne_u32_e32 vcc, 63, v4
	v_addc_co_u32_e32 v3, vcc, 0, v3, vcc
	v_lshlrev_b32_e32 v3, 2, v3
	ds_bpermute_b32 v3, v3, v2
	s_waitcnt lgkmcnt(0)
	v_add_f32_e32 v2, v2, v3
	s_cmp_gt_u32 s6, 64
	s_cbranch_scc1 .LBB5_23
.LBB5_43:
	s_mov_b64 s[0:1], 0
                                        ; implicit-def: $vgpr3
	s_cbranch_execz .LBB5_36
; %bb.44:
	v_cmp_eq_u32_e32 vcc, 0, v1
	s_andn2_b64 s[0:1], s[0:1], exec
	s_and_b64 s[2:3], vcc, exec
	s_or_b64 s[0:1], s[0:1], s[2:3]
	s_and_saveexec_b64 s[2:3], s[0:1]
	s_cbranch_execz .LBB5_46
.LBB5_45:
	v_mov_b32_e32 v1, 0
	v_cvt_f16_f32_e32 v2, v2
	v_lshlrev_b64 v[0:1], 1, v[0:1]
	s_waitcnt lgkmcnt(0)
	v_mov_b32_e32 v3, s9
	v_add_co_u32_e32 v0, vcc, s8, v0
	v_addc_co_u32_e32 v1, vcc, v3, v1, vcc
	global_store_short v[0:1], v2, off
.LBB5_46:
	s_endpgm
.LBB5_47:
	v_mbcnt_hi_u32_b32 v5, -1, v4
	v_mov_b32_e32 v6, 0x80
	v_lshl_or_b32 v5, v5, 2, v6
	s_waitcnt lgkmcnt(0)
	ds_bpermute_b32 v5, v5, v3
	s_waitcnt lgkmcnt(0)
	v_add_f32_e32 v3, v3, v5
	s_cmpk_lt_u32 s6, 0x800
	s_cbranch_scc1 .LBB5_30
.LBB5_48:
	v_mbcnt_hi_u32_b32 v5, -1, v4
	v_and_b32_e32 v6, 48, v5
	v_cmp_ne_u32_e32 vcc, 48, v6
	v_cndmask_b32_e64 v6, 0, 1, vcc
	v_lshlrev_b32_e32 v6, 4, v6
	v_add_lshl_u32 v5, v6, v5, 2
	s_waitcnt lgkmcnt(0)
	ds_bpermute_b32 v5, v5, v3
	s_waitcnt lgkmcnt(0)
	v_add_f32_e32 v3, v3, v5
	s_cmpk_lt_u32 s6, 0x400
	s_cbranch_scc1 .LBB5_31
.LBB5_49:
	v_mbcnt_hi_u32_b32 v5, -1, v4
	v_and_b32_e32 v6, 56, v5
	v_cmp_ne_u32_e32 vcc, 56, v6
	v_cndmask_b32_e64 v6, 0, 1, vcc
	v_lshlrev_b32_e32 v6, 3, v6
	v_add_lshl_u32 v5, v6, v5, 2
	s_waitcnt lgkmcnt(0)
	ds_bpermute_b32 v5, v5, v3
	s_waitcnt lgkmcnt(0)
	v_add_f32_e32 v3, v3, v5
	s_cmpk_lt_u32 s6, 0x200
	s_cbranch_scc1 .LBB5_32
.LBB5_50:
	v_mbcnt_hi_u32_b32 v5, -1, v4
	v_and_b32_e32 v6, 60, v5
	v_cmp_ne_u32_e32 vcc, 60, v6
	v_cndmask_b32_e64 v6, 0, 1, vcc
	v_lshlrev_b32_e32 v6, 2, v6
	v_add_lshl_u32 v5, v6, v5, 2
	s_waitcnt lgkmcnt(0)
	ds_bpermute_b32 v5, v5, v3
	s_waitcnt lgkmcnt(0)
	v_add_f32_e32 v3, v3, v5
	s_cmpk_lt_u32 s6, 0x100
	s_cbranch_scc1 .LBB5_33
.LBB5_51:
	v_mbcnt_hi_u32_b32 v5, -1, v4
	v_and_b32_e32 v6, 62, v5
	v_cmp_ne_u32_e32 vcc, 62, v6
	v_cndmask_b32_e64 v6, 0, 1, vcc
	v_lshlrev_b32_e32 v6, 1, v6
	v_add_lshl_u32 v5, v6, v5, 2
	s_waitcnt lgkmcnt(0)
	ds_bpermute_b32 v5, v5, v3
	s_waitcnt lgkmcnt(0)
	v_add_f32_e32 v3, v3, v5
	s_cmpk_lt_u32 s6, 0x80
	s_cbranch_scc0 .LBB5_34
	s_branch .LBB5_35
	.section	.rodata,"a",@progbits
	.p2align	6, 0x0
	.amdhsa_kernel _Z19gemv_quantized_int8ILj64EEvPaP6__halfS2_jS1_S1_j
		.amdhsa_group_segment_fixed_size 16384
		.amdhsa_private_segment_fixed_size 0
		.amdhsa_kernarg_size 296
		.amdhsa_user_sgpr_count 6
		.amdhsa_user_sgpr_private_segment_buffer 1
		.amdhsa_user_sgpr_dispatch_ptr 0
		.amdhsa_user_sgpr_queue_ptr 0
		.amdhsa_user_sgpr_kernarg_segment_ptr 1
		.amdhsa_user_sgpr_dispatch_id 0
		.amdhsa_user_sgpr_flat_scratch_init 0
		.amdhsa_user_sgpr_kernarg_preload_length 0
		.amdhsa_user_sgpr_kernarg_preload_offset 0
		.amdhsa_user_sgpr_private_segment_size 0
		.amdhsa_uses_dynamic_stack 0
		.amdhsa_system_sgpr_private_segment_wavefront_offset 0
		.amdhsa_system_sgpr_workgroup_id_x 1
		.amdhsa_system_sgpr_workgroup_id_y 1
		.amdhsa_system_sgpr_workgroup_id_z 0
		.amdhsa_system_sgpr_workgroup_info 0
		.amdhsa_system_vgpr_workitem_id 1
		.amdhsa_next_free_vgpr 30
		.amdhsa_next_free_sgpr 15
		.amdhsa_accum_offset 32
		.amdhsa_reserve_vcc 1
		.amdhsa_reserve_flat_scratch 0
		.amdhsa_float_round_mode_32 0
		.amdhsa_float_round_mode_16_64 0
		.amdhsa_float_denorm_mode_32 3
		.amdhsa_float_denorm_mode_16_64 3
		.amdhsa_dx10_clamp 1
		.amdhsa_ieee_mode 1
		.amdhsa_fp16_overflow 0
		.amdhsa_tg_split 0
		.amdhsa_exception_fp_ieee_invalid_op 0
		.amdhsa_exception_fp_denorm_src 0
		.amdhsa_exception_fp_ieee_div_zero 0
		.amdhsa_exception_fp_ieee_overflow 0
		.amdhsa_exception_fp_ieee_underflow 0
		.amdhsa_exception_fp_ieee_inexact 0
		.amdhsa_exception_int_div_zero 0
	.end_amdhsa_kernel
	.section	.text._Z19gemv_quantized_int8ILj64EEvPaP6__halfS2_jS1_S1_j,"axG",@progbits,_Z19gemv_quantized_int8ILj64EEvPaP6__halfS2_jS1_S1_j,comdat
.Lfunc_end5:
	.size	_Z19gemv_quantized_int8ILj64EEvPaP6__halfS2_jS1_S1_j, .Lfunc_end5-_Z19gemv_quantized_int8ILj64EEvPaP6__halfS2_jS1_S1_j
                                        ; -- End function
	.section	.AMDGPU.csdata,"",@progbits
; Kernel info:
; codeLenInByte = 2460
; NumSgprs: 19
; NumVgprs: 30
; NumAgprs: 0
; TotalNumVgprs: 30
; ScratchSize: 0
; MemoryBound: 0
; FloatMode: 240
; IeeeMode: 1
; LDSByteSize: 16384 bytes/workgroup (compile time only)
; SGPRBlocks: 2
; VGPRBlocks: 3
; NumSGPRsForWavesPerEU: 19
; NumVGPRsForWavesPerEU: 30
; AccumOffset: 32
; Occupancy: 8
; WaveLimiterHint : 0
; COMPUTE_PGM_RSRC2:SCRATCH_EN: 0
; COMPUTE_PGM_RSRC2:USER_SGPR: 6
; COMPUTE_PGM_RSRC2:TRAP_HANDLER: 0
; COMPUTE_PGM_RSRC2:TGID_X_EN: 1
; COMPUTE_PGM_RSRC2:TGID_Y_EN: 1
; COMPUTE_PGM_RSRC2:TGID_Z_EN: 0
; COMPUTE_PGM_RSRC2:TIDIG_COMP_CNT: 1
; COMPUTE_PGM_RSRC3_GFX90A:ACCUM_OFFSET: 7
; COMPUTE_PGM_RSRC3_GFX90A:TG_SPLIT: 0
	.section	.text._Z19gemv_quantized_int8ILj32EEvPaP6__halfS2_jS1_S1_j,"axG",@progbits,_Z19gemv_quantized_int8ILj32EEvPaP6__halfS2_jS1_S1_j,comdat
	.protected	_Z19gemv_quantized_int8ILj32EEvPaP6__halfS2_jS1_S1_j ; -- Begin function _Z19gemv_quantized_int8ILj32EEvPaP6__halfS2_jS1_S1_j
	.globl	_Z19gemv_quantized_int8ILj32EEvPaP6__halfS2_jS1_S1_j
	.p2align	8
	.type	_Z19gemv_quantized_int8ILj32EEvPaP6__halfS2_jS1_S1_j,@function
_Z19gemv_quantized_int8ILj32EEvPaP6__halfS2_jS1_S1_j: ; @_Z19gemv_quantized_int8ILj32EEvPaP6__halfS2_jS1_S1_j
; %bb.0:
	s_load_dword s6, s[4:5], 0x34
	s_load_dwordx2 s[10:11], s[4:5], 0x1c
	s_load_dwordx4 s[0:3], s[4:5], 0x0
	s_load_dwordx2 s[8:9], s[4:5], 0x10
	v_bfe_u32 v8, v0, 10, 10
	s_waitcnt lgkmcnt(0)
	s_lshr_b32 s12, s6, 16
	s_mul_i32 s7, s7, s12
	s_and_b32 s6, s6, 0xffff
	v_and_b32_e32 v1, 0x3ff, v0
	s_cmp_gt_u32 s11, 7
	v_add_u32_e32 v0, s7, v8
	s_cbranch_scc0 .LBB6_8
; %bb.1:
	s_load_dword s5, s[4:5], 0x18
	s_lshr_b32 s7, s10, 16
	v_cvt_f32_f16_e32 v2, s7
	s_lshr_b32 s4, s11, 3
	s_waitcnt lgkmcnt(0)
	s_lshr_b32 s7, s5, 3
	v_mul_lo_u32 v10, v0, s7
	s_cmp_eq_u32 s4, 1
	v_mov_b32_e32 v3, v2
	s_cbranch_scc1 .LBB6_9
; %bb.2:
	v_mov_b32_e32 v5, 0
	s_and_b32 s12, s4, 0x1ffffffe
	s_lshl_b32 s13, s6, 1
	v_add_u32_e32 v11, s6, v10
	s_mov_b32 s14, 0
	v_mov_b32_e32 v4, v1
	v_mov_b32_e32 v9, v5
	s_branch .LBB6_4
.LBB6_3:                                ;   in Loop: Header=BB6_4 Depth=1
	s_or_b64 exec, exec, s[4:5]
	s_add_i32 s14, s14, 2
	s_cmp_eq_u32 s12, s14
	v_add_u32_e32 v4, s13, v4
	s_cbranch_scc1 .LBB6_10
.LBB6_4:                                ; =>This Inner Loop Header: Depth=1
	v_cmp_gt_u32_e32 vcc, s7, v4
	s_and_saveexec_b64 s[4:5], vcc
	s_cbranch_execz .LBB6_6
; %bb.5:                                ;   in Loop: Header=BB6_4 Depth=1
	v_lshlrev_b64 v[6:7], 4, v[4:5]
	v_mov_b32_e32 v12, s3
	v_add_co_u32_e32 v6, vcc, s2, v6
	v_addc_co_u32_e32 v7, vcc, v12, v7, vcc
	v_add_u32_e32 v16, v10, v4
	v_mov_b32_e32 v17, v5
	global_load_dwordx4 v[12:15], v[6:7], off
	v_lshlrev_b64 v[6:7], 3, v[16:17]
	v_mov_b32_e32 v16, s1
	v_add_co_u32_e32 v6, vcc, s0, v6
	v_addc_co_u32_e32 v7, vcc, v16, v7, vcc
	global_load_dwordx2 v[6:7], v[6:7], off
	s_waitcnt vmcnt(1)
	v_cvt_f32_f16_e32 v16, v12
	v_cvt_f32_f16_sdwa v17, v12 dst_sel:DWORD dst_unused:UNUSED_PAD src0_sel:WORD_1
	v_cvt_f32_f16_e32 v12, v13
	v_cvt_f32_f16_sdwa v13, v13 dst_sel:DWORD dst_unused:UNUSED_PAD src0_sel:WORD_1
	;; [unrolled: 2-line block ×3, first 2 shown]
	v_cvt_f32_f16_e32 v14, v15
	s_waitcnt vmcnt(0)
	v_lshrrev_b32_e32 v20, 8, v6
	v_bfe_i32 v21, v6, 0, 8
	v_lshrrev_b32_e32 v22, 16, v6
	v_lshrrev_b32_e32 v6, 24, v6
	;; [unrolled: 1-line block ×3, first 2 shown]
	v_bfe_i32 v24, v7, 0, 8
	v_lshrrev_b32_e32 v25, 16, v7
	v_lshrrev_b32_e32 v7, 24, v7
	v_bfe_i32 v26, v20, 0, 8
	v_bfe_i32 v27, v6, 0, 8
	;; [unrolled: 1-line block ×4, first 2 shown]
	v_cvt_f32_i32_sdwa v6, sext(v21) dst_sel:DWORD dst_unused:UNUSED_PAD src0_sel:WORD_0
	v_cvt_f32_i32_sdwa v7, sext(v26) dst_sel:DWORD dst_unused:UNUSED_PAD src0_sel:WORD_0
	v_bfe_i32 v22, v22, 0, 8
	v_bfe_i32 v28, v23, 0, 8
	v_cvt_f32_i32_sdwa v23, sext(v27) dst_sel:DWORD dst_unused:UNUSED_PAD src0_sel:WORD_0
	v_cvt_f32_i32_sdwa v22, sext(v22) dst_sel:DWORD dst_unused:UNUSED_PAD src0_sel:WORD_0
	;; [unrolled: 1-line block ×4, first 2 shown]
	v_pk_add_f32 v[6:7], v[6:7], v[2:3] neg_lo:[0,1] neg_hi:[0,1]
	v_pk_mul_f32 v[6:7], v[6:7], v[16:17]
	v_cvt_f32_i32_sdwa v25, sext(v25) dst_sel:DWORD dst_unused:UNUSED_PAD src0_sel:WORD_0
	v_cvt_f32_i32_sdwa v24, sext(v29) dst_sel:DWORD dst_unused:UNUSED_PAD src0_sel:WORD_0
	v_pk_add_f32 v[22:23], v[22:23], v[2:3] neg_lo:[0,1] neg_hi:[0,1]
	v_add_f32_e32 v6, v9, v6
	v_cvt_f32_f16_sdwa v15, v15 dst_sel:DWORD dst_unused:UNUSED_PAD src0_sel:WORD_1
	v_pk_mul_f32 v[12:13], v[22:23], v[12:13]
	v_add_f32_e32 v6, v6, v7
	v_pk_add_f32 v[20:21], v[20:21], v[2:3] neg_lo:[0,1] neg_hi:[0,1]
	v_add_f32_e32 v6, v6, v12
	v_pk_mul_f32 v[16:17], v[20:21], v[18:19]
	v_add_f32_e32 v6, v6, v13
	v_pk_add_f32 v[24:25], v[24:25], v[2:3] neg_lo:[0,1] neg_hi:[0,1]
	v_add_f32_e32 v6, v6, v16
	v_add_f32_e32 v9, v6, v17
	v_pk_mul_f32 v[6:7], v[24:25], v[14:15]
	v_add_f32_e32 v6, v9, v6
	v_add_f32_e32 v9, v6, v7
.LBB6_6:                                ;   in Loop: Header=BB6_4 Depth=1
	s_or_b64 exec, exec, s[4:5]
	v_add_u32_e32 v6, s6, v4
	v_cmp_gt_u32_e32 vcc, s7, v6
	s_and_saveexec_b64 s[4:5], vcc
	s_cbranch_execz .LBB6_3
; %bb.7:                                ;   in Loop: Header=BB6_4 Depth=1
	v_add_u32_e32 v12, v11, v4
	v_mov_b32_e32 v13, v5
	v_lshlrev_b64 v[12:13], 3, v[12:13]
	v_mov_b32_e32 v7, s1
	v_add_co_u32_e32 v12, vcc, s0, v12
	v_addc_co_u32_e32 v13, vcc, v7, v13, vcc
	v_mov_b32_e32 v7, v5
	global_load_dwordx2 v[16:17], v[12:13], off
	v_lshlrev_b64 v[6:7], 4, v[6:7]
	v_mov_b32_e32 v12, s3
	v_add_co_u32_e32 v6, vcc, s2, v6
	v_addc_co_u32_e32 v7, vcc, v12, v7, vcc
	global_load_dwordx4 v[12:15], v[6:7], off
	s_waitcnt vmcnt(1)
	v_lshrrev_b32_e32 v18, 8, v16
	v_bfe_i32 v19, v16, 0, 8
	v_bfe_i32 v26, v18, 0, 8
	v_lshrrev_b32_e32 v20, 16, v16
	v_lshrrev_b32_e32 v21, 24, v16
	v_cvt_f32_i32_sdwa v18, sext(v19) dst_sel:DWORD dst_unused:UNUSED_PAD src0_sel:WORD_0
	v_cvt_f32_i32_sdwa v19, sext(v26) dst_sel:DWORD dst_unused:UNUSED_PAD src0_sel:WORD_0
	v_lshrrev_b32_e32 v22, 8, v17
	v_bfe_i32 v23, v17, 0, 8
	s_waitcnt vmcnt(0)
	v_cvt_f32_f16_e32 v6, v12
	v_cvt_f32_f16_sdwa v7, v12 dst_sel:DWORD dst_unused:UNUSED_PAD src0_sel:WORD_1
	v_bfe_i32 v27, v20, 0, 8
	v_bfe_i32 v21, v21, 0, 8
	;; [unrolled: 1-line block ×3, first 2 shown]
	v_cvt_f32_i32_sdwa v20, sext(v23) dst_sel:DWORD dst_unused:UNUSED_PAD src0_sel:WORD_0
	v_cvt_f32_i32_sdwa v23, sext(v21) dst_sel:DWORD dst_unused:UNUSED_PAD src0_sel:WORD_0
	;; [unrolled: 1-line block ×3, first 2 shown]
	v_cvt_f32_f16_e32 v12, v13
	v_cvt_f32_f16_sdwa v13, v13 dst_sel:DWORD dst_unused:UNUSED_PAD src0_sel:WORD_1
	v_lshrrev_b32_e32 v24, 16, v17
	v_lshrrev_b32_e32 v25, 24, v17
	v_cvt_f32_i32_sdwa v21, sext(v28) dst_sel:DWORD dst_unused:UNUSED_PAD src0_sel:WORD_0
	v_pk_add_f32 v[18:19], v[18:19], v[2:3] neg_lo:[0,1] neg_hi:[0,1]
	v_cvt_f32_f16_e32 v16, v14
	v_cvt_f32_f16_sdwa v17, v14 dst_sel:DWORD dst_unused:UNUSED_PAD src0_sel:WORD_1
	v_bfe_i32 v24, v24, 0, 8
	v_bfe_i32 v25, v25, 0, 8
	v_pk_mul_f32 v[6:7], v[18:19], v[6:7]
	v_cvt_f32_i32_sdwa v25, sext(v25) dst_sel:DWORD dst_unused:UNUSED_PAD src0_sel:WORD_0
	v_cvt_f32_i32_sdwa v24, sext(v24) dst_sel:DWORD dst_unused:UNUSED_PAD src0_sel:WORD_0
	v_pk_add_f32 v[22:23], v[22:23], v[2:3] neg_lo:[0,1] neg_hi:[0,1]
	v_add_f32_e32 v6, v9, v6
	v_cvt_f32_f16_e32 v14, v15
	v_cvt_f32_f16_sdwa v15, v15 dst_sel:DWORD dst_unused:UNUSED_PAD src0_sel:WORD_1
	v_pk_mul_f32 v[12:13], v[22:23], v[12:13]
	v_add_f32_e32 v6, v6, v7
	v_pk_add_f32 v[20:21], v[20:21], v[2:3] neg_lo:[0,1] neg_hi:[0,1]
	v_add_f32_e32 v6, v6, v12
	v_pk_mul_f32 v[16:17], v[20:21], v[16:17]
	v_add_f32_e32 v6, v6, v13
	v_pk_add_f32 v[24:25], v[24:25], v[2:3] neg_lo:[0,1] neg_hi:[0,1]
	v_add_f32_e32 v6, v6, v16
	v_add_f32_e32 v9, v6, v17
	v_pk_mul_f32 v[6:7], v[24:25], v[14:15]
	v_add_f32_e32 v6, v9, v6
	v_add_f32_e32 v9, v6, v7
	s_branch .LBB6_3
.LBB6_8:
                                        ; implicit-def: $vgpr9
	s_cbranch_execnz .LBB6_15
	s_branch .LBB6_16
.LBB6_9:
	s_mov_b32 s12, 0
	v_mov_b32_e32 v9, 0
.LBB6_10:
	s_bitcmp0_b32 s11, 3
	s_cbranch_scc1 .LBB6_14
; %bb.11:
	s_mul_i32 s4, s12, s6
	v_add_u32_e32 v4, s4, v1
	v_cmp_gt_u32_e32 vcc, s7, v4
	s_and_saveexec_b64 s[4:5], vcc
	s_cbranch_execz .LBB6_13
; %bb.12:
	v_mov_b32_e32 v5, 0
	v_lshlrev_b64 v[6:7], 4, v[4:5]
	v_mov_b32_e32 v11, s3
	v_add_co_u32_e32 v6, vcc, s2, v6
	v_add_u32_e32 v4, v4, v10
	v_addc_co_u32_e32 v7, vcc, v11, v7, vcc
	v_lshlrev_b64 v[4:5], 3, v[4:5]
	global_load_dwordx4 v[12:15], v[6:7], off
	v_mov_b32_e32 v6, s1
	v_add_co_u32_e32 v4, vcc, s0, v4
	v_addc_co_u32_e32 v5, vcc, v6, v5, vcc
	global_load_dwordx2 v[4:5], v[4:5], off
	s_waitcnt vmcnt(1)
	v_cvt_f32_f16_e32 v6, v12
	v_cvt_f32_f16_sdwa v7, v12 dst_sel:DWORD dst_unused:UNUSED_PAD src0_sel:WORD_1
	v_cvt_f32_f16_e32 v10, v13
	v_cvt_f32_f16_sdwa v11, v13 dst_sel:DWORD dst_unused:UNUSED_PAD src0_sel:WORD_1
	;; [unrolled: 2-line block ×3, first 2 shown]
	s_waitcnt vmcnt(0)
	v_lshrrev_b32_e32 v16, 8, v4
	v_bfe_i32 v17, v4, 0, 8
	v_lshrrev_b32_e32 v18, 16, v4
	v_lshrrev_b32_e32 v4, 24, v4
	;; [unrolled: 1-line block ×3, first 2 shown]
	v_bfe_i32 v20, v5, 0, 8
	v_lshrrev_b32_e32 v21, 16, v5
	v_lshrrev_b32_e32 v5, 24, v5
	v_bfe_i32 v22, v16, 0, 8
	v_bfe_i32 v23, v4, 0, 8
	;; [unrolled: 1-line block ×4, first 2 shown]
	v_cvt_f32_i32_sdwa v4, sext(v17) dst_sel:DWORD dst_unused:UNUSED_PAD src0_sel:WORD_0
	v_cvt_f32_i32_sdwa v5, sext(v22) dst_sel:DWORD dst_unused:UNUSED_PAD src0_sel:WORD_0
	v_bfe_i32 v18, v18, 0, 8
	v_bfe_i32 v24, v19, 0, 8
	v_cvt_f32_i32_sdwa v19, sext(v23) dst_sel:DWORD dst_unused:UNUSED_PAD src0_sel:WORD_0
	v_cvt_f32_i32_sdwa v18, sext(v18) dst_sel:DWORD dst_unused:UNUSED_PAD src0_sel:WORD_0
	;; [unrolled: 1-line block ×4, first 2 shown]
	v_pk_add_f32 v[4:5], v[4:5], v[2:3] neg_lo:[0,1] neg_hi:[0,1]
	v_pk_mul_f32 v[4:5], v[4:5], v[6:7]
	v_cvt_f32_i32_sdwa v21, sext(v21) dst_sel:DWORD dst_unused:UNUSED_PAD src0_sel:WORD_0
	v_cvt_f32_i32_sdwa v20, sext(v25) dst_sel:DWORD dst_unused:UNUSED_PAD src0_sel:WORD_0
	v_pk_add_f32 v[18:19], v[18:19], v[2:3] neg_lo:[0,1] neg_hi:[0,1]
	v_add_f32_e32 v4, v9, v4
	v_cvt_f32_f16_e32 v14, v15
	v_cvt_f32_f16_sdwa v15, v15 dst_sel:DWORD dst_unused:UNUSED_PAD src0_sel:WORD_1
	v_pk_mul_f32 v[6:7], v[18:19], v[10:11]
	v_add_f32_e32 v4, v4, v5
	v_pk_add_f32 v[16:17], v[16:17], v[2:3] neg_lo:[0,1] neg_hi:[0,1]
	v_add_f32_e32 v4, v4, v6
	v_pk_mul_f32 v[10:11], v[16:17], v[12:13]
	v_add_f32_e32 v4, v4, v7
	v_pk_add_f32 v[2:3], v[20:21], v[2:3] neg_lo:[0,1] neg_hi:[0,1]
	v_add_f32_e32 v4, v4, v10
	v_add_f32_e32 v4, v4, v11
	v_pk_mul_f32 v[2:3], v[2:3], v[14:15]
	v_add_f32_e32 v2, v4, v2
	v_add_f32_e32 v9, v2, v3
.LBB6_13:
	s_or_b64 exec, exec, s[4:5]
.LBB6_14:
	s_branch .LBB6_16
.LBB6_15:
	v_mov_b32_e32 v9, 0
.LBB6_16:
	v_cvt_f32_f16_e32 v2, s10
	s_cmp_gt_u32 s6, 63
	s_cselect_b64 s[0:1], -1, 0
	s_cmp_lt_u32 s6, 64
	v_mul_f32_e32 v2, v9, v2
	s_cbranch_scc0 .LBB6_37
; %bb.17:
	s_cmp_lt_u32 s6, 32
	s_cbranch_scc0 .LBB6_38
.LBB6_18:
	s_cmp_lt_u32 s6, 16
	s_cbranch_scc0 .LBB6_39
.LBB6_19:
	s_cmp_lt_u32 s6, 8
	s_cbranch_scc0 .LBB6_40
.LBB6_20:
	s_cmp_lt_u32 s6, 4
	s_cbranch_scc0 .LBB6_41
.LBB6_21:
	s_cmp_lt_u32 s6, 2
	s_cbranch_scc0 .LBB6_42
.LBB6_22:
	s_cmp_gt_u32 s6, 32
	s_cbranch_scc0 .LBB6_43
.LBB6_23:
	v_and_b32_e32 v4, 31, v1
	v_cmp_eq_u32_e32 vcc, 0, v4
	s_and_saveexec_b64 s[2:3], vcc
	s_cbranch_execz .LBB6_25
; %bb.24:
	v_lshrrev_b32_e32 v3, 3, v1
	v_lshl_or_b32 v3, v8, 7, v3
	ds_write_b32 v3, v2
.LBB6_25:
	s_or_b64 exec, exec, s[2:3]
	s_bfe_u32 s2, s6, 0x100005
	v_cmp_gt_u32_e32 vcc, s2, v1
	v_mov_b32_e32 v3, 0
	s_waitcnt lgkmcnt(0)
	s_barrier
	s_and_saveexec_b64 s[2:3], vcc
	s_cbranch_execz .LBB6_27
; %bb.26:
	v_lshlrev_b32_e32 v3, 2, v4
	v_lshl_or_b32 v3, v8, 7, v3
	ds_read_b32 v3, v3
.LBB6_27:
	s_or_b64 exec, exec, s[2:3]
	v_cmp_gt_u32_e32 vcc, 32, v1
	s_and_saveexec_b64 s[2:3], vcc
	s_cbranch_execz .LBB6_35
; %bb.28:
	s_cmpk_lt_u32 s6, 0x800
	v_mbcnt_lo_u32_b32 v4, -1, 0
	s_cbranch_scc0 .LBB6_47
; %bb.29:
	s_cmpk_lt_u32 s6, 0x400
	s_cbranch_scc0 .LBB6_48
.LBB6_30:
	s_cmpk_lt_u32 s6, 0x200
	s_cbranch_scc0 .LBB6_49
.LBB6_31:
	s_cmpk_lt_u32 s6, 0x100
	s_cbranch_scc0 .LBB6_50
.LBB6_32:
	s_cmpk_lt_u32 s6, 0x80
	s_cbranch_scc0 .LBB6_51
.LBB6_33:
	s_andn2_b64 vcc, exec, s[0:1]
	s_cbranch_vccnz .LBB6_35
.LBB6_34:
	v_mbcnt_hi_u32_b32 v4, -1, v4
	v_and_b32_e32 v5, 63, v4
	v_cmp_ne_u32_e32 vcc, 63, v5
	v_addc_co_u32_e32 v4, vcc, 0, v4, vcc
	v_lshlrev_b32_e32 v4, 2, v4
	s_waitcnt lgkmcnt(0)
	ds_bpermute_b32 v4, v4, v3
	s_waitcnt lgkmcnt(0)
	v_add_f32_e32 v3, v3, v4
.LBB6_35:
	s_or_b64 exec, exec, s[2:3]
	v_cmp_eq_u32_e64 s[0:1], 0, v1
.LBB6_36:
	s_waitcnt lgkmcnt(0)
	v_mov_b32_e32 v2, v3
	s_and_saveexec_b64 s[2:3], s[0:1]
	s_cbranch_execnz .LBB6_45
	s_branch .LBB6_46
.LBB6_37:
	v_mbcnt_lo_u32_b32 v3, -1, 0
	v_mbcnt_hi_u32_b32 v3, -1, v3
	v_mov_b32_e32 v4, 0x80
	v_lshl_or_b32 v3, v3, 2, v4
	ds_bpermute_b32 v3, v3, v2
	s_waitcnt lgkmcnt(0)
	v_add_f32_e32 v2, v2, v3
	s_cmp_lt_u32 s6, 32
	s_cbranch_scc1 .LBB6_18
.LBB6_38:
	v_mbcnt_lo_u32_b32 v3, -1, 0
	v_mbcnt_hi_u32_b32 v3, -1, v3
	v_and_b32_e32 v4, 48, v3
	v_cmp_ne_u32_e32 vcc, 48, v4
	v_cndmask_b32_e64 v4, 0, 1, vcc
	v_lshlrev_b32_e32 v4, 4, v4
	v_add_lshl_u32 v3, v4, v3, 2
	ds_bpermute_b32 v3, v3, v2
	s_waitcnt lgkmcnt(0)
	v_add_f32_e32 v2, v2, v3
	s_cmp_lt_u32 s6, 16
	s_cbranch_scc1 .LBB6_19
.LBB6_39:
	v_mbcnt_lo_u32_b32 v3, -1, 0
	v_mbcnt_hi_u32_b32 v3, -1, v3
	v_and_b32_e32 v4, 56, v3
	v_cmp_ne_u32_e32 vcc, 56, v4
	v_cndmask_b32_e64 v4, 0, 1, vcc
	v_lshlrev_b32_e32 v4, 3, v4
	v_add_lshl_u32 v3, v4, v3, 2
	ds_bpermute_b32 v3, v3, v2
	s_waitcnt lgkmcnt(0)
	v_add_f32_e32 v2, v2, v3
	s_cmp_lt_u32 s6, 8
	s_cbranch_scc1 .LBB6_20
.LBB6_40:
	v_mbcnt_lo_u32_b32 v3, -1, 0
	v_mbcnt_hi_u32_b32 v3, -1, v3
	v_and_b32_e32 v4, 60, v3
	v_cmp_ne_u32_e32 vcc, 60, v4
	v_cndmask_b32_e64 v4, 0, 1, vcc
	v_lshlrev_b32_e32 v4, 2, v4
	v_add_lshl_u32 v3, v4, v3, 2
	ds_bpermute_b32 v3, v3, v2
	s_waitcnt lgkmcnt(0)
	v_add_f32_e32 v2, v2, v3
	s_cmp_lt_u32 s6, 4
	s_cbranch_scc1 .LBB6_21
.LBB6_41:
	v_mbcnt_lo_u32_b32 v3, -1, 0
	v_mbcnt_hi_u32_b32 v3, -1, v3
	v_and_b32_e32 v4, 62, v3
	v_cmp_ne_u32_e32 vcc, 62, v4
	v_cndmask_b32_e64 v4, 0, 1, vcc
	v_lshlrev_b32_e32 v4, 1, v4
	v_add_lshl_u32 v3, v4, v3, 2
	ds_bpermute_b32 v3, v3, v2
	s_waitcnt lgkmcnt(0)
	v_add_f32_e32 v2, v2, v3
	s_cmp_lt_u32 s6, 2
	s_cbranch_scc1 .LBB6_22
.LBB6_42:
	v_mbcnt_lo_u32_b32 v3, -1, 0
	v_mbcnt_hi_u32_b32 v3, -1, v3
	v_and_b32_e32 v4, 63, v3
	v_cmp_ne_u32_e32 vcc, 63, v4
	v_addc_co_u32_e32 v3, vcc, 0, v3, vcc
	v_lshlrev_b32_e32 v3, 2, v3
	ds_bpermute_b32 v3, v3, v2
	s_waitcnt lgkmcnt(0)
	v_add_f32_e32 v2, v2, v3
	s_cmp_gt_u32 s6, 32
	s_cbranch_scc1 .LBB6_23
.LBB6_43:
	s_mov_b64 s[0:1], 0
                                        ; implicit-def: $vgpr3
	s_cbranch_execz .LBB6_36
; %bb.44:
	v_cmp_eq_u32_e32 vcc, 0, v1
	s_andn2_b64 s[0:1], s[0:1], exec
	s_and_b64 s[2:3], vcc, exec
	s_or_b64 s[0:1], s[0:1], s[2:3]
	s_and_saveexec_b64 s[2:3], s[0:1]
	s_cbranch_execz .LBB6_46
.LBB6_45:
	v_mov_b32_e32 v1, 0
	v_cvt_f16_f32_e32 v2, v2
	v_lshlrev_b64 v[0:1], 1, v[0:1]
	s_waitcnt lgkmcnt(0)
	v_mov_b32_e32 v3, s9
	v_add_co_u32_e32 v0, vcc, s8, v0
	v_addc_co_u32_e32 v1, vcc, v3, v1, vcc
	global_store_short v[0:1], v2, off
.LBB6_46:
	s_endpgm
.LBB6_47:
	v_mbcnt_hi_u32_b32 v5, -1, v4
	v_mov_b32_e32 v6, 0x80
	v_lshl_or_b32 v5, v5, 2, v6
	s_waitcnt lgkmcnt(0)
	ds_bpermute_b32 v5, v5, v3
	s_waitcnt lgkmcnt(0)
	v_add_f32_e32 v3, v3, v5
	s_cmpk_lt_u32 s6, 0x400
	s_cbranch_scc1 .LBB6_30
.LBB6_48:
	v_mbcnt_hi_u32_b32 v5, -1, v4
	v_and_b32_e32 v6, 48, v5
	v_cmp_ne_u32_e32 vcc, 48, v6
	v_cndmask_b32_e64 v6, 0, 1, vcc
	v_lshlrev_b32_e32 v6, 4, v6
	v_add_lshl_u32 v5, v6, v5, 2
	s_waitcnt lgkmcnt(0)
	ds_bpermute_b32 v5, v5, v3
	s_waitcnt lgkmcnt(0)
	v_add_f32_e32 v3, v3, v5
	s_cmpk_lt_u32 s6, 0x200
	s_cbranch_scc1 .LBB6_31
.LBB6_49:
	v_mbcnt_hi_u32_b32 v5, -1, v4
	v_and_b32_e32 v6, 56, v5
	v_cmp_ne_u32_e32 vcc, 56, v6
	v_cndmask_b32_e64 v6, 0, 1, vcc
	v_lshlrev_b32_e32 v6, 3, v6
	v_add_lshl_u32 v5, v6, v5, 2
	s_waitcnt lgkmcnt(0)
	ds_bpermute_b32 v5, v5, v3
	s_waitcnt lgkmcnt(0)
	v_add_f32_e32 v3, v3, v5
	s_cmpk_lt_u32 s6, 0x100
	s_cbranch_scc1 .LBB6_32
.LBB6_50:
	v_mbcnt_hi_u32_b32 v5, -1, v4
	v_and_b32_e32 v6, 60, v5
	v_cmp_ne_u32_e32 vcc, 60, v6
	v_cndmask_b32_e64 v6, 0, 1, vcc
	v_lshlrev_b32_e32 v6, 2, v6
	v_add_lshl_u32 v5, v6, v5, 2
	s_waitcnt lgkmcnt(0)
	ds_bpermute_b32 v5, v5, v3
	s_waitcnt lgkmcnt(0)
	v_add_f32_e32 v3, v3, v5
	s_cmpk_lt_u32 s6, 0x80
	s_cbranch_scc1 .LBB6_33
.LBB6_51:
	v_mbcnt_hi_u32_b32 v5, -1, v4
	v_and_b32_e32 v6, 62, v5
	v_cmp_ne_u32_e32 vcc, 62, v6
	v_cndmask_b32_e64 v6, 0, 1, vcc
	v_lshlrev_b32_e32 v6, 1, v6
	v_add_lshl_u32 v5, v6, v5, 2
	s_waitcnt lgkmcnt(0)
	ds_bpermute_b32 v5, v5, v3
	s_waitcnt lgkmcnt(0)
	v_add_f32_e32 v3, v3, v5
	s_andn2_b64 vcc, exec, s[0:1]
	s_cbranch_vccz .LBB6_34
	s_branch .LBB6_35
	.section	.rodata,"a",@progbits
	.p2align	6, 0x0
	.amdhsa_kernel _Z19gemv_quantized_int8ILj32EEvPaP6__halfS2_jS1_S1_j
		.amdhsa_group_segment_fixed_size 8192
		.amdhsa_private_segment_fixed_size 0
		.amdhsa_kernarg_size 296
		.amdhsa_user_sgpr_count 6
		.amdhsa_user_sgpr_private_segment_buffer 1
		.amdhsa_user_sgpr_dispatch_ptr 0
		.amdhsa_user_sgpr_queue_ptr 0
		.amdhsa_user_sgpr_kernarg_segment_ptr 1
		.amdhsa_user_sgpr_dispatch_id 0
		.amdhsa_user_sgpr_flat_scratch_init 0
		.amdhsa_user_sgpr_kernarg_preload_length 0
		.amdhsa_user_sgpr_kernarg_preload_offset 0
		.amdhsa_user_sgpr_private_segment_size 0
		.amdhsa_uses_dynamic_stack 0
		.amdhsa_system_sgpr_private_segment_wavefront_offset 0
		.amdhsa_system_sgpr_workgroup_id_x 1
		.amdhsa_system_sgpr_workgroup_id_y 1
		.amdhsa_system_sgpr_workgroup_id_z 0
		.amdhsa_system_sgpr_workgroup_info 0
		.amdhsa_system_vgpr_workitem_id 1
		.amdhsa_next_free_vgpr 30
		.amdhsa_next_free_sgpr 15
		.amdhsa_accum_offset 32
		.amdhsa_reserve_vcc 1
		.amdhsa_reserve_flat_scratch 0
		.amdhsa_float_round_mode_32 0
		.amdhsa_float_round_mode_16_64 0
		.amdhsa_float_denorm_mode_32 3
		.amdhsa_float_denorm_mode_16_64 3
		.amdhsa_dx10_clamp 1
		.amdhsa_ieee_mode 1
		.amdhsa_fp16_overflow 0
		.amdhsa_tg_split 0
		.amdhsa_exception_fp_ieee_invalid_op 0
		.amdhsa_exception_fp_denorm_src 0
		.amdhsa_exception_fp_ieee_div_zero 0
		.amdhsa_exception_fp_ieee_overflow 0
		.amdhsa_exception_fp_ieee_underflow 0
		.amdhsa_exception_fp_ieee_inexact 0
		.amdhsa_exception_int_div_zero 0
	.end_amdhsa_kernel
	.section	.text._Z19gemv_quantized_int8ILj32EEvPaP6__halfS2_jS1_S1_j,"axG",@progbits,_Z19gemv_quantized_int8ILj32EEvPaP6__halfS2_jS1_S1_j,comdat
.Lfunc_end6:
	.size	_Z19gemv_quantized_int8ILj32EEvPaP6__halfS2_jS1_S1_j, .Lfunc_end6-_Z19gemv_quantized_int8ILj32EEvPaP6__halfS2_jS1_S1_j
                                        ; -- End function
	.section	.AMDGPU.csdata,"",@progbits
; Kernel info:
; codeLenInByte = 2468
; NumSgprs: 19
; NumVgprs: 30
; NumAgprs: 0
; TotalNumVgprs: 30
; ScratchSize: 0
; MemoryBound: 0
; FloatMode: 240
; IeeeMode: 1
; LDSByteSize: 8192 bytes/workgroup (compile time only)
; SGPRBlocks: 2
; VGPRBlocks: 3
; NumSGPRsForWavesPerEU: 19
; NumVGPRsForWavesPerEU: 30
; AccumOffset: 32
; Occupancy: 8
; WaveLimiterHint : 0
; COMPUTE_PGM_RSRC2:SCRATCH_EN: 0
; COMPUTE_PGM_RSRC2:USER_SGPR: 6
; COMPUTE_PGM_RSRC2:TRAP_HANDLER: 0
; COMPUTE_PGM_RSRC2:TGID_X_EN: 1
; COMPUTE_PGM_RSRC2:TGID_Y_EN: 1
; COMPUTE_PGM_RSRC2:TGID_Z_EN: 0
; COMPUTE_PGM_RSRC2:TIDIG_COMP_CNT: 1
; COMPUTE_PGM_RSRC3_GFX90A:ACCUM_OFFSET: 7
; COMPUTE_PGM_RSRC3_GFX90A:TG_SPLIT: 0
	.section	.text._Z9gemv_fp16ILj64EEvP6__halfS1_S1_jj,"axG",@progbits,_Z9gemv_fp16ILj64EEvP6__halfS1_S1_jj,comdat
	.protected	_Z9gemv_fp16ILj64EEvP6__halfS1_S1_jj ; -- Begin function _Z9gemv_fp16ILj64EEvP6__halfS1_S1_jj
	.globl	_Z9gemv_fp16ILj64EEvP6__halfS1_S1_jj
	.p2align	8
	.type	_Z9gemv_fp16ILj64EEvP6__halfS1_S1_jj,@function
_Z9gemv_fp16ILj64EEvP6__halfS1_S1_jj:   ; @_Z9gemv_fp16ILj64EEvP6__halfS1_S1_jj
; %bb.0:
	s_load_dword s0, s[4:5], 0x2c
	s_load_dwordx8 s[8:15], s[4:5], 0x0
	v_bfe_u32 v7, v0, 10, 10
	v_and_b32_e32 v1, 0x3ff, v0
	s_waitcnt lgkmcnt(0)
	s_lshr_b32 s1, s0, 16
	s_mul_i32 s7, s7, s1
	s_and_b32 s2, s0, 0xffff
	s_cmp_gt_u32 s15, 7
	v_add_u32_e32 v0, s7, v7
	s_cbranch_scc0 .LBB7_8
; %bb.1:
	s_lshr_b32 s0, s15, 3
	s_lshr_b32 s3, s14, 3
	s_cmp_eq_u32 s0, 1
	v_mul_lo_u32 v8, v0, s3
	s_cbranch_scc1 .LBB7_9
; %bb.2:
	v_mov_b32_e32 v3, 0
	s_and_b32 s4, s0, 0x1ffffffe
	s_lshl_b32 s5, s2, 1
	v_add_u32_e32 v9, s2, v8
	s_mov_b32 s6, 0
	v_mov_b32_e32 v2, v1
	v_mov_b32_e32 v6, v3
	s_branch .LBB7_4
.LBB7_3:                                ;   in Loop: Header=BB7_4 Depth=1
	s_or_b64 exec, exec, s[0:1]
	s_add_i32 s6, s6, 2
	s_cmp_eq_u32 s4, s6
	v_add_u32_e32 v2, s5, v2
	s_cbranch_scc1 .LBB7_10
.LBB7_4:                                ; =>This Inner Loop Header: Depth=1
	v_cmp_gt_u32_e32 vcc, s3, v2
	s_and_saveexec_b64 s[0:1], vcc
	s_cbranch_execz .LBB7_6
; %bb.5:                                ;   in Loop: Header=BB7_4 Depth=1
	v_lshlrev_b64 v[4:5], 4, v[2:3]
	v_mov_b32_e32 v10, s11
	v_add_co_u32_e32 v4, vcc, s10, v4
	v_addc_co_u32_e32 v5, vcc, v10, v5, vcc
	v_add_u32_e32 v14, v8, v2
	v_mov_b32_e32 v15, v3
	global_load_dwordx4 v[10:13], v[4:5], off
	v_lshlrev_b64 v[4:5], 4, v[14:15]
	v_mov_b32_e32 v14, s9
	v_add_co_u32_e32 v4, vcc, s8, v4
	v_addc_co_u32_e32 v5, vcc, v14, v5, vcc
	global_load_dwordx4 v[14:17], v[4:5], off
	s_waitcnt vmcnt(1)
	v_cvt_f32_f16_e32 v4, v10
	v_cvt_f32_f16_sdwa v5, v10 dst_sel:DWORD dst_unused:UNUSED_PAD src0_sel:WORD_1
	v_cvt_f32_f16_e32 v10, v11
	v_cvt_f32_f16_sdwa v11, v11 dst_sel:DWORD dst_unused:UNUSED_PAD src0_sel:WORD_1
	;; [unrolled: 2-line block ×3, first 2 shown]
	v_cvt_f32_f16_e32 v12, v13
	s_waitcnt vmcnt(0)
	v_cvt_f32_f16_e32 v20, v14
	v_cvt_f32_f16_sdwa v21, v14 dst_sel:DWORD dst_unused:UNUSED_PAD src0_sel:WORD_1
	v_cvt_f32_f16_e32 v14, v15
	v_cvt_f32_f16_sdwa v15, v15 dst_sel:DWORD dst_unused:UNUSED_PAD src0_sel:WORD_1
	;; [unrolled: 2-line block ×3, first 2 shown]
	v_pk_mul_f32 v[4:5], v[4:5], v[20:21]
	v_add_f32_e32 v4, v6, v4
	v_cvt_f32_f16_sdwa v13, v13 dst_sel:DWORD dst_unused:UNUSED_PAD src0_sel:WORD_1
	v_cvt_f32_f16_e32 v16, v17
	v_cvt_f32_f16_sdwa v17, v17 dst_sel:DWORD dst_unused:UNUSED_PAD src0_sel:WORD_1
	v_pk_mul_f32 v[10:11], v[10:11], v[14:15]
	v_add_f32_e32 v4, v4, v5
	v_add_f32_e32 v4, v4, v10
	v_pk_mul_f32 v[14:15], v[18:19], v[22:23]
	v_add_f32_e32 v4, v4, v11
	v_add_f32_e32 v4, v4, v14
	;; [unrolled: 1-line block ×3, first 2 shown]
	v_pk_mul_f32 v[4:5], v[12:13], v[16:17]
	v_add_f32_e32 v4, v6, v4
	v_add_f32_e32 v6, v4, v5
.LBB7_6:                                ;   in Loop: Header=BB7_4 Depth=1
	s_or_b64 exec, exec, s[0:1]
	v_add_u32_e32 v4, s2, v2
	v_cmp_gt_u32_e32 vcc, s3, v4
	s_and_saveexec_b64 s[0:1], vcc
	s_cbranch_execz .LBB7_3
; %bb.7:                                ;   in Loop: Header=BB7_4 Depth=1
	v_mov_b32_e32 v5, v3
	v_lshlrev_b64 v[4:5], 4, v[4:5]
	v_mov_b32_e32 v10, s11
	v_add_co_u32_e32 v4, vcc, s10, v4
	v_addc_co_u32_e32 v5, vcc, v10, v5, vcc
	v_add_u32_e32 v10, v9, v2
	v_mov_b32_e32 v11, v3
	v_lshlrev_b64 v[14:15], 4, v[10:11]
	v_mov_b32_e32 v16, s9
	global_load_dwordx4 v[10:13], v[4:5], off
	v_add_co_u32_e32 v4, vcc, s8, v14
	v_addc_co_u32_e32 v5, vcc, v16, v15, vcc
	global_load_dwordx4 v[14:17], v[4:5], off
	s_waitcnt vmcnt(1)
	v_cvt_f32_f16_e32 v4, v10
	v_cvt_f32_f16_sdwa v5, v10 dst_sel:DWORD dst_unused:UNUSED_PAD src0_sel:WORD_1
	v_cvt_f32_f16_e32 v10, v11
	v_cvt_f32_f16_sdwa v11, v11 dst_sel:DWORD dst_unused:UNUSED_PAD src0_sel:WORD_1
	v_cvt_f32_f16_e32 v20, v12
	s_waitcnt vmcnt(0)
	v_cvt_f32_f16_e32 v18, v14
	v_cvt_f32_f16_sdwa v19, v14 dst_sel:DWORD dst_unused:UNUSED_PAD src0_sel:WORD_1
	v_cvt_f32_f16_e32 v14, v15
	v_cvt_f32_f16_sdwa v15, v15 dst_sel:DWORD dst_unused:UNUSED_PAD src0_sel:WORD_1
	v_cvt_f32_f16_sdwa v21, v12 dst_sel:DWORD dst_unused:UNUSED_PAD src0_sel:WORD_1
	v_cvt_f32_f16_e32 v22, v16
	v_cvt_f32_f16_sdwa v23, v16 dst_sel:DWORD dst_unused:UNUSED_PAD src0_sel:WORD_1
	v_pk_mul_f32 v[4:5], v[4:5], v[18:19]
	v_add_f32_e32 v4, v6, v4
	v_cvt_f32_f16_e32 v12, v13
	v_cvt_f32_f16_sdwa v13, v13 dst_sel:DWORD dst_unused:UNUSED_PAD src0_sel:WORD_1
	v_cvt_f32_f16_e32 v16, v17
	v_cvt_f32_f16_sdwa v17, v17 dst_sel:DWORD dst_unused:UNUSED_PAD src0_sel:WORD_1
	v_pk_mul_f32 v[10:11], v[10:11], v[14:15]
	v_add_f32_e32 v4, v4, v5
	v_add_f32_e32 v4, v4, v10
	v_pk_mul_f32 v[14:15], v[20:21], v[22:23]
	v_add_f32_e32 v4, v4, v11
	v_add_f32_e32 v4, v4, v14
	;; [unrolled: 1-line block ×3, first 2 shown]
	v_pk_mul_f32 v[4:5], v[12:13], v[16:17]
	v_add_f32_e32 v4, v6, v4
	v_add_f32_e32 v6, v4, v5
	s_branch .LBB7_3
.LBB7_8:
                                        ; implicit-def: $vgpr6
	s_cbranch_execnz .LBB7_15
	s_branch .LBB7_16
.LBB7_9:
	s_mov_b32 s4, 0
	v_mov_b32_e32 v6, 0
.LBB7_10:
	s_bitcmp0_b32 s15, 3
	s_cbranch_scc1 .LBB7_14
; %bb.11:
	s_mul_i32 s0, s4, s2
	v_add_u32_e32 v2, s0, v1
	v_cmp_gt_u32_e32 vcc, s3, v2
	s_and_saveexec_b64 s[0:1], vcc
	s_cbranch_execz .LBB7_13
; %bb.12:
	v_mov_b32_e32 v3, 0
	v_lshlrev_b64 v[4:5], 4, v[2:3]
	v_mov_b32_e32 v9, s11
	v_add_co_u32_e32 v4, vcc, s10, v4
	v_add_u32_e32 v2, v2, v8
	v_addc_co_u32_e32 v5, vcc, v9, v5, vcc
	v_lshlrev_b64 v[2:3], 4, v[2:3]
	global_load_dwordx4 v[10:13], v[4:5], off
	v_mov_b32_e32 v4, s9
	v_add_co_u32_e32 v2, vcc, s8, v2
	v_addc_co_u32_e32 v3, vcc, v4, v3, vcc
	global_load_dwordx4 v[2:5], v[2:3], off
	s_waitcnt vmcnt(1)
	v_cvt_f32_f16_e32 v8, v10
	v_cvt_f32_f16_sdwa v9, v10 dst_sel:DWORD dst_unused:UNUSED_PAD src0_sel:WORD_1
	v_cvt_f32_f16_e32 v10, v11
	v_cvt_f32_f16_sdwa v11, v11 dst_sel:DWORD dst_unused:UNUSED_PAD src0_sel:WORD_1
	;; [unrolled: 2-line block ×3, first 2 shown]
	s_waitcnt vmcnt(0)
	v_cvt_f32_f16_e32 v16, v2
	v_cvt_f32_f16_sdwa v17, v2 dst_sel:DWORD dst_unused:UNUSED_PAD src0_sel:WORD_1
	v_cvt_f32_f16_e32 v2, v3
	v_cvt_f32_f16_sdwa v3, v3 dst_sel:DWORD dst_unused:UNUSED_PAD src0_sel:WORD_1
	;; [unrolled: 2-line block ×3, first 2 shown]
	v_pk_mul_f32 v[8:9], v[8:9], v[16:17]
	v_add_f32_e32 v6, v6, v8
	v_cvt_f32_f16_e32 v12, v13
	v_cvt_f32_f16_sdwa v13, v13 dst_sel:DWORD dst_unused:UNUSED_PAD src0_sel:WORD_1
	v_cvt_f32_f16_e32 v4, v5
	v_cvt_f32_f16_sdwa v5, v5 dst_sel:DWORD dst_unused:UNUSED_PAD src0_sel:WORD_1
	v_pk_mul_f32 v[2:3], v[10:11], v[2:3]
	v_add_f32_e32 v6, v6, v9
	v_add_f32_e32 v2, v6, v2
	v_pk_mul_f32 v[10:11], v[14:15], v[18:19]
	v_add_f32_e32 v2, v2, v3
	v_add_f32_e32 v2, v2, v10
	;; [unrolled: 1-line block ×3, first 2 shown]
	v_pk_mul_f32 v[2:3], v[12:13], v[4:5]
	v_add_f32_e32 v2, v6, v2
	v_add_f32_e32 v6, v2, v3
.LBB7_13:
	s_or_b64 exec, exec, s[0:1]
.LBB7_14:
	s_branch .LBB7_16
.LBB7_15:
	v_mov_b32_e32 v6, 0
.LBB7_16:
	s_cmp_lt_u32 s2, 64
	s_cbranch_scc0 .LBB7_37
; %bb.17:
	s_cmp_lt_u32 s2, 32
	s_cbranch_scc0 .LBB7_38
.LBB7_18:
	s_cmp_lt_u32 s2, 16
	s_cbranch_scc0 .LBB7_39
.LBB7_19:
	s_cmp_lt_u32 s2, 8
	s_cbranch_scc0 .LBB7_40
.LBB7_20:
	s_cmp_lt_u32 s2, 4
	s_cbranch_scc0 .LBB7_41
.LBB7_21:
	s_cmp_lt_u32 s2, 2
	s_cbranch_scc0 .LBB7_42
.LBB7_22:
	s_cmp_gt_u32 s2, 64
	s_cbranch_scc0 .LBB7_43
.LBB7_23:
	v_and_b32_e32 v3, 63, v1
	v_cmp_eq_u32_e32 vcc, 0, v3
	s_and_saveexec_b64 s[0:1], vcc
	s_cbranch_execz .LBB7_25
; %bb.24:
	v_lshrrev_b32_e32 v2, 4, v1
	v_lshl_or_b32 v2, v7, 8, v2
	ds_write_b32 v2, v6
.LBB7_25:
	s_or_b64 exec, exec, s[0:1]
	s_bfe_u32 s0, s2, 0x100006
	v_cmp_gt_u32_e32 vcc, s0, v1
	v_mov_b32_e32 v2, 0
	s_waitcnt lgkmcnt(0)
	s_barrier
	s_and_saveexec_b64 s[0:1], vcc
	s_cbranch_execz .LBB7_27
; %bb.26:
	v_lshlrev_b32_e32 v2, 2, v3
	v_lshl_or_b32 v2, v7, 8, v2
	ds_read_b32 v2, v2
.LBB7_27:
	s_or_b64 exec, exec, s[0:1]
	v_cmp_gt_u32_e32 vcc, 64, v1
	s_and_saveexec_b64 s[0:1], vcc
	s_cbranch_execz .LBB7_35
; %bb.28:
	s_cmpk_lt_u32 s2, 0x1000
	v_mbcnt_lo_u32_b32 v3, -1, 0
	s_cbranch_scc0 .LBB7_47
; %bb.29:
	s_cmpk_lt_u32 s2, 0x800
	s_cbranch_scc0 .LBB7_48
.LBB7_30:
	s_cmpk_lt_u32 s2, 0x400
	s_cbranch_scc0 .LBB7_49
.LBB7_31:
	s_cmpk_lt_u32 s2, 0x200
	s_cbranch_scc0 .LBB7_50
.LBB7_32:
	s_cmpk_lt_u32 s2, 0x100
	s_cbranch_scc0 .LBB7_51
.LBB7_33:
	s_cmpk_lt_u32 s2, 0x80
	s_cbranch_scc1 .LBB7_35
.LBB7_34:
	v_mbcnt_hi_u32_b32 v3, -1, v3
	v_and_b32_e32 v4, 63, v3
	v_cmp_ne_u32_e32 vcc, 63, v4
	v_addc_co_u32_e32 v3, vcc, 0, v3, vcc
	v_lshlrev_b32_e32 v3, 2, v3
	s_waitcnt lgkmcnt(0)
	ds_bpermute_b32 v3, v3, v2
	s_waitcnt lgkmcnt(0)
	v_add_f32_e32 v2, v2, v3
.LBB7_35:
	s_or_b64 exec, exec, s[0:1]
	v_cmp_eq_u32_e64 s[0:1], 0, v1
.LBB7_36:
	s_waitcnt lgkmcnt(0)
	v_mov_b32_e32 v6, v2
	s_and_saveexec_b64 s[2:3], s[0:1]
	s_cbranch_execnz .LBB7_45
	s_branch .LBB7_46
.LBB7_37:
	v_mbcnt_lo_u32_b32 v2, -1, 0
	v_mbcnt_hi_u32_b32 v2, -1, v2
	v_mov_b32_e32 v3, 0x80
	v_lshl_or_b32 v2, v2, 2, v3
	ds_bpermute_b32 v2, v2, v6
	s_waitcnt lgkmcnt(0)
	v_add_f32_e32 v6, v6, v2
	s_cmp_lt_u32 s2, 32
	s_cbranch_scc1 .LBB7_18
.LBB7_38:
	v_mbcnt_lo_u32_b32 v2, -1, 0
	v_mbcnt_hi_u32_b32 v2, -1, v2
	v_and_b32_e32 v3, 48, v2
	v_cmp_ne_u32_e32 vcc, 48, v3
	v_cndmask_b32_e64 v3, 0, 1, vcc
	v_lshlrev_b32_e32 v3, 4, v3
	v_add_lshl_u32 v2, v3, v2, 2
	ds_bpermute_b32 v2, v2, v6
	s_waitcnt lgkmcnt(0)
	v_add_f32_e32 v6, v6, v2
	s_cmp_lt_u32 s2, 16
	s_cbranch_scc1 .LBB7_19
.LBB7_39:
	v_mbcnt_lo_u32_b32 v2, -1, 0
	v_mbcnt_hi_u32_b32 v2, -1, v2
	v_and_b32_e32 v3, 56, v2
	v_cmp_ne_u32_e32 vcc, 56, v3
	v_cndmask_b32_e64 v3, 0, 1, vcc
	v_lshlrev_b32_e32 v3, 3, v3
	v_add_lshl_u32 v2, v3, v2, 2
	ds_bpermute_b32 v2, v2, v6
	s_waitcnt lgkmcnt(0)
	v_add_f32_e32 v6, v6, v2
	s_cmp_lt_u32 s2, 8
	s_cbranch_scc1 .LBB7_20
.LBB7_40:
	v_mbcnt_lo_u32_b32 v2, -1, 0
	v_mbcnt_hi_u32_b32 v2, -1, v2
	v_and_b32_e32 v3, 60, v2
	v_cmp_ne_u32_e32 vcc, 60, v3
	v_cndmask_b32_e64 v3, 0, 1, vcc
	v_lshlrev_b32_e32 v3, 2, v3
	v_add_lshl_u32 v2, v3, v2, 2
	ds_bpermute_b32 v2, v2, v6
	s_waitcnt lgkmcnt(0)
	v_add_f32_e32 v6, v6, v2
	s_cmp_lt_u32 s2, 4
	s_cbranch_scc1 .LBB7_21
.LBB7_41:
	v_mbcnt_lo_u32_b32 v2, -1, 0
	v_mbcnt_hi_u32_b32 v2, -1, v2
	v_and_b32_e32 v3, 62, v2
	v_cmp_ne_u32_e32 vcc, 62, v3
	v_cndmask_b32_e64 v3, 0, 1, vcc
	v_lshlrev_b32_e32 v3, 1, v3
	v_add_lshl_u32 v2, v3, v2, 2
	ds_bpermute_b32 v2, v2, v6
	s_waitcnt lgkmcnt(0)
	v_add_f32_e32 v6, v6, v2
	s_cmp_lt_u32 s2, 2
	s_cbranch_scc1 .LBB7_22
.LBB7_42:
	v_mbcnt_lo_u32_b32 v2, -1, 0
	v_mbcnt_hi_u32_b32 v2, -1, v2
	v_and_b32_e32 v3, 63, v2
	v_cmp_ne_u32_e32 vcc, 63, v3
	v_addc_co_u32_e32 v2, vcc, 0, v2, vcc
	v_lshlrev_b32_e32 v2, 2, v2
	ds_bpermute_b32 v2, v2, v6
	s_waitcnt lgkmcnt(0)
	v_add_f32_e32 v6, v6, v2
	s_cmp_gt_u32 s2, 64
	s_cbranch_scc1 .LBB7_23
.LBB7_43:
	s_mov_b64 s[0:1], 0
                                        ; implicit-def: $vgpr2
	s_cbranch_execz .LBB7_36
; %bb.44:
	v_cmp_eq_u32_e32 vcc, 0, v1
	s_andn2_b64 s[0:1], s[0:1], exec
	s_and_b64 s[2:3], vcc, exec
	s_or_b64 s[0:1], s[0:1], s[2:3]
	s_and_saveexec_b64 s[2:3], s[0:1]
	s_cbranch_execz .LBB7_46
.LBB7_45:
	v_mov_b32_e32 v1, 0
	v_cvt_f16_f32_e32 v3, v6
	v_lshlrev_b64 v[0:1], 1, v[0:1]
	s_waitcnt lgkmcnt(0)
	v_mov_b32_e32 v2, s13
	v_add_co_u32_e32 v0, vcc, s12, v0
	v_addc_co_u32_e32 v1, vcc, v2, v1, vcc
	global_store_short v[0:1], v3, off
.LBB7_46:
	s_endpgm
.LBB7_47:
	v_mbcnt_hi_u32_b32 v4, -1, v3
	v_mov_b32_e32 v5, 0x80
	v_lshl_or_b32 v4, v4, 2, v5
	s_waitcnt lgkmcnt(0)
	ds_bpermute_b32 v4, v4, v2
	s_waitcnt lgkmcnt(0)
	v_add_f32_e32 v2, v2, v4
	s_cmpk_lt_u32 s2, 0x800
	s_cbranch_scc1 .LBB7_30
.LBB7_48:
	v_mbcnt_hi_u32_b32 v4, -1, v3
	v_and_b32_e32 v5, 48, v4
	v_cmp_ne_u32_e32 vcc, 48, v5
	v_cndmask_b32_e64 v5, 0, 1, vcc
	v_lshlrev_b32_e32 v5, 4, v5
	v_add_lshl_u32 v4, v5, v4, 2
	s_waitcnt lgkmcnt(0)
	ds_bpermute_b32 v4, v4, v2
	s_waitcnt lgkmcnt(0)
	v_add_f32_e32 v2, v2, v4
	s_cmpk_lt_u32 s2, 0x400
	s_cbranch_scc1 .LBB7_31
.LBB7_49:
	v_mbcnt_hi_u32_b32 v4, -1, v3
	v_and_b32_e32 v5, 56, v4
	v_cmp_ne_u32_e32 vcc, 56, v5
	v_cndmask_b32_e64 v5, 0, 1, vcc
	v_lshlrev_b32_e32 v5, 3, v5
	v_add_lshl_u32 v4, v5, v4, 2
	s_waitcnt lgkmcnt(0)
	ds_bpermute_b32 v4, v4, v2
	s_waitcnt lgkmcnt(0)
	v_add_f32_e32 v2, v2, v4
	s_cmpk_lt_u32 s2, 0x200
	s_cbranch_scc1 .LBB7_32
.LBB7_50:
	v_mbcnt_hi_u32_b32 v4, -1, v3
	v_and_b32_e32 v5, 60, v4
	v_cmp_ne_u32_e32 vcc, 60, v5
	v_cndmask_b32_e64 v5, 0, 1, vcc
	v_lshlrev_b32_e32 v5, 2, v5
	v_add_lshl_u32 v4, v5, v4, 2
	s_waitcnt lgkmcnt(0)
	ds_bpermute_b32 v4, v4, v2
	s_waitcnt lgkmcnt(0)
	v_add_f32_e32 v2, v2, v4
	s_cmpk_lt_u32 s2, 0x100
	s_cbranch_scc1 .LBB7_33
.LBB7_51:
	v_mbcnt_hi_u32_b32 v4, -1, v3
	v_and_b32_e32 v5, 62, v4
	v_cmp_ne_u32_e32 vcc, 62, v5
	v_cndmask_b32_e64 v5, 0, 1, vcc
	v_lshlrev_b32_e32 v5, 1, v5
	v_add_lshl_u32 v4, v5, v4, 2
	s_waitcnt lgkmcnt(0)
	ds_bpermute_b32 v4, v4, v2
	s_waitcnt lgkmcnt(0)
	v_add_f32_e32 v2, v2, v4
	s_cmpk_lt_u32 s2, 0x80
	s_cbranch_scc0 .LBB7_34
	s_branch .LBB7_35
	.section	.rodata,"a",@progbits
	.p2align	6, 0x0
	.amdhsa_kernel _Z9gemv_fp16ILj64EEvP6__halfS1_S1_jj
		.amdhsa_group_segment_fixed_size 16384
		.amdhsa_private_segment_fixed_size 0
		.amdhsa_kernarg_size 288
		.amdhsa_user_sgpr_count 6
		.amdhsa_user_sgpr_private_segment_buffer 1
		.amdhsa_user_sgpr_dispatch_ptr 0
		.amdhsa_user_sgpr_queue_ptr 0
		.amdhsa_user_sgpr_kernarg_segment_ptr 1
		.amdhsa_user_sgpr_dispatch_id 0
		.amdhsa_user_sgpr_flat_scratch_init 0
		.amdhsa_user_sgpr_kernarg_preload_length 0
		.amdhsa_user_sgpr_kernarg_preload_offset 0
		.amdhsa_user_sgpr_private_segment_size 0
		.amdhsa_uses_dynamic_stack 0
		.amdhsa_system_sgpr_private_segment_wavefront_offset 0
		.amdhsa_system_sgpr_workgroup_id_x 1
		.amdhsa_system_sgpr_workgroup_id_y 1
		.amdhsa_system_sgpr_workgroup_id_z 0
		.amdhsa_system_sgpr_workgroup_info 0
		.amdhsa_system_vgpr_workitem_id 1
		.amdhsa_next_free_vgpr 24
		.amdhsa_next_free_sgpr 16
		.amdhsa_accum_offset 24
		.amdhsa_reserve_vcc 1
		.amdhsa_reserve_flat_scratch 0
		.amdhsa_float_round_mode_32 0
		.amdhsa_float_round_mode_16_64 0
		.amdhsa_float_denorm_mode_32 3
		.amdhsa_float_denorm_mode_16_64 3
		.amdhsa_dx10_clamp 1
		.amdhsa_ieee_mode 1
		.amdhsa_fp16_overflow 0
		.amdhsa_tg_split 0
		.amdhsa_exception_fp_ieee_invalid_op 0
		.amdhsa_exception_fp_denorm_src 0
		.amdhsa_exception_fp_ieee_div_zero 0
		.amdhsa_exception_fp_ieee_overflow 0
		.amdhsa_exception_fp_ieee_underflow 0
		.amdhsa_exception_fp_ieee_inexact 0
		.amdhsa_exception_int_div_zero 0
	.end_amdhsa_kernel
	.section	.text._Z9gemv_fp16ILj64EEvP6__halfS1_S1_jj,"axG",@progbits,_Z9gemv_fp16ILj64EEvP6__halfS1_S1_jj,comdat
.Lfunc_end7:
	.size	_Z9gemv_fp16ILj64EEvP6__halfS1_S1_jj, .Lfunc_end7-_Z9gemv_fp16ILj64EEvP6__halfS1_S1_jj
                                        ; -- End function
	.section	.AMDGPU.csdata,"",@progbits
; Kernel info:
; codeLenInByte = 2004
; NumSgprs: 20
; NumVgprs: 24
; NumAgprs: 0
; TotalNumVgprs: 24
; ScratchSize: 0
; MemoryBound: 0
; FloatMode: 240
; IeeeMode: 1
; LDSByteSize: 16384 bytes/workgroup (compile time only)
; SGPRBlocks: 2
; VGPRBlocks: 2
; NumSGPRsForWavesPerEU: 20
; NumVGPRsForWavesPerEU: 24
; AccumOffset: 24
; Occupancy: 8
; WaveLimiterHint : 0
; COMPUTE_PGM_RSRC2:SCRATCH_EN: 0
; COMPUTE_PGM_RSRC2:USER_SGPR: 6
; COMPUTE_PGM_RSRC2:TRAP_HANDLER: 0
; COMPUTE_PGM_RSRC2:TGID_X_EN: 1
; COMPUTE_PGM_RSRC2:TGID_Y_EN: 1
; COMPUTE_PGM_RSRC2:TGID_Z_EN: 0
; COMPUTE_PGM_RSRC2:TIDIG_COMP_CNT: 1
; COMPUTE_PGM_RSRC3_GFX90A:ACCUM_OFFSET: 5
; COMPUTE_PGM_RSRC3_GFX90A:TG_SPLIT: 0
	.section	.text._Z9gemv_fp16ILj32EEvP6__halfS1_S1_jj,"axG",@progbits,_Z9gemv_fp16ILj32EEvP6__halfS1_S1_jj,comdat
	.protected	_Z9gemv_fp16ILj32EEvP6__halfS1_S1_jj ; -- Begin function _Z9gemv_fp16ILj32EEvP6__halfS1_S1_jj
	.globl	_Z9gemv_fp16ILj32EEvP6__halfS1_S1_jj
	.p2align	8
	.type	_Z9gemv_fp16ILj32EEvP6__halfS1_S1_jj,@function
_Z9gemv_fp16ILj32EEvP6__halfS1_S1_jj:   ; @_Z9gemv_fp16ILj32EEvP6__halfS1_S1_jj
; %bb.0:
	s_load_dword s0, s[4:5], 0x2c
	s_load_dwordx8 s[8:15], s[4:5], 0x0
	v_bfe_u32 v7, v0, 10, 10
	v_and_b32_e32 v1, 0x3ff, v0
	s_waitcnt lgkmcnt(0)
	s_lshr_b32 s1, s0, 16
	s_mul_i32 s7, s7, s1
	s_and_b32 s4, s0, 0xffff
	s_cmp_gt_u32 s15, 7
	v_add_u32_e32 v0, s7, v7
	s_cbranch_scc0 .LBB8_8
; %bb.1:
	s_lshr_b32 s0, s15, 3
	s_lshr_b32 s2, s14, 3
	s_cmp_eq_u32 s0, 1
	v_mul_lo_u32 v8, v0, s2
	s_cbranch_scc1 .LBB8_9
; %bb.2:
	v_mov_b32_e32 v3, 0
	s_and_b32 s3, s0, 0x1ffffffe
	s_lshl_b32 s5, s4, 1
	v_add_u32_e32 v9, s4, v8
	s_mov_b32 s6, 0
	v_mov_b32_e32 v2, v1
	v_mov_b32_e32 v6, v3
	s_branch .LBB8_4
.LBB8_3:                                ;   in Loop: Header=BB8_4 Depth=1
	s_or_b64 exec, exec, s[0:1]
	s_add_i32 s6, s6, 2
	s_cmp_eq_u32 s3, s6
	v_add_u32_e32 v2, s5, v2
	s_cbranch_scc1 .LBB8_10
.LBB8_4:                                ; =>This Inner Loop Header: Depth=1
	v_cmp_gt_u32_e32 vcc, s2, v2
	s_and_saveexec_b64 s[0:1], vcc
	s_cbranch_execz .LBB8_6
; %bb.5:                                ;   in Loop: Header=BB8_4 Depth=1
	v_lshlrev_b64 v[4:5], 4, v[2:3]
	v_mov_b32_e32 v10, s11
	v_add_co_u32_e32 v4, vcc, s10, v4
	v_addc_co_u32_e32 v5, vcc, v10, v5, vcc
	v_add_u32_e32 v14, v8, v2
	v_mov_b32_e32 v15, v3
	global_load_dwordx4 v[10:13], v[4:5], off
	v_lshlrev_b64 v[4:5], 4, v[14:15]
	v_mov_b32_e32 v14, s9
	v_add_co_u32_e32 v4, vcc, s8, v4
	v_addc_co_u32_e32 v5, vcc, v14, v5, vcc
	global_load_dwordx4 v[14:17], v[4:5], off
	s_waitcnt vmcnt(1)
	v_cvt_f32_f16_e32 v4, v10
	v_cvt_f32_f16_sdwa v5, v10 dst_sel:DWORD dst_unused:UNUSED_PAD src0_sel:WORD_1
	v_cvt_f32_f16_e32 v10, v11
	v_cvt_f32_f16_sdwa v11, v11 dst_sel:DWORD dst_unused:UNUSED_PAD src0_sel:WORD_1
	v_cvt_f32_f16_e32 v18, v12
	v_cvt_f32_f16_sdwa v19, v12 dst_sel:DWORD dst_unused:UNUSED_PAD src0_sel:WORD_1
	v_cvt_f32_f16_e32 v12, v13
	s_waitcnt vmcnt(0)
	v_cvt_f32_f16_e32 v20, v14
	v_cvt_f32_f16_sdwa v21, v14 dst_sel:DWORD dst_unused:UNUSED_PAD src0_sel:WORD_1
	v_cvt_f32_f16_e32 v14, v15
	v_cvt_f32_f16_sdwa v15, v15 dst_sel:DWORD dst_unused:UNUSED_PAD src0_sel:WORD_1
	;; [unrolled: 2-line block ×3, first 2 shown]
	v_pk_mul_f32 v[4:5], v[4:5], v[20:21]
	v_add_f32_e32 v4, v6, v4
	v_cvt_f32_f16_sdwa v13, v13 dst_sel:DWORD dst_unused:UNUSED_PAD src0_sel:WORD_1
	v_cvt_f32_f16_e32 v16, v17
	v_cvt_f32_f16_sdwa v17, v17 dst_sel:DWORD dst_unused:UNUSED_PAD src0_sel:WORD_1
	v_pk_mul_f32 v[10:11], v[10:11], v[14:15]
	v_add_f32_e32 v4, v4, v5
	v_add_f32_e32 v4, v4, v10
	v_pk_mul_f32 v[14:15], v[18:19], v[22:23]
	v_add_f32_e32 v4, v4, v11
	v_add_f32_e32 v4, v4, v14
	v_add_f32_e32 v6, v4, v15
	v_pk_mul_f32 v[4:5], v[12:13], v[16:17]
	v_add_f32_e32 v4, v6, v4
	v_add_f32_e32 v6, v4, v5
.LBB8_6:                                ;   in Loop: Header=BB8_4 Depth=1
	s_or_b64 exec, exec, s[0:1]
	v_add_u32_e32 v4, s4, v2
	v_cmp_gt_u32_e32 vcc, s2, v4
	s_and_saveexec_b64 s[0:1], vcc
	s_cbranch_execz .LBB8_3
; %bb.7:                                ;   in Loop: Header=BB8_4 Depth=1
	v_mov_b32_e32 v5, v3
	v_lshlrev_b64 v[4:5], 4, v[4:5]
	v_mov_b32_e32 v10, s11
	v_add_co_u32_e32 v4, vcc, s10, v4
	v_addc_co_u32_e32 v5, vcc, v10, v5, vcc
	v_add_u32_e32 v10, v9, v2
	v_mov_b32_e32 v11, v3
	v_lshlrev_b64 v[14:15], 4, v[10:11]
	v_mov_b32_e32 v16, s9
	global_load_dwordx4 v[10:13], v[4:5], off
	v_add_co_u32_e32 v4, vcc, s8, v14
	v_addc_co_u32_e32 v5, vcc, v16, v15, vcc
	global_load_dwordx4 v[14:17], v[4:5], off
	s_waitcnt vmcnt(1)
	v_cvt_f32_f16_e32 v4, v10
	v_cvt_f32_f16_sdwa v5, v10 dst_sel:DWORD dst_unused:UNUSED_PAD src0_sel:WORD_1
	v_cvt_f32_f16_e32 v10, v11
	v_cvt_f32_f16_sdwa v11, v11 dst_sel:DWORD dst_unused:UNUSED_PAD src0_sel:WORD_1
	v_cvt_f32_f16_e32 v20, v12
	s_waitcnt vmcnt(0)
	v_cvt_f32_f16_e32 v18, v14
	v_cvt_f32_f16_sdwa v19, v14 dst_sel:DWORD dst_unused:UNUSED_PAD src0_sel:WORD_1
	v_cvt_f32_f16_e32 v14, v15
	v_cvt_f32_f16_sdwa v15, v15 dst_sel:DWORD dst_unused:UNUSED_PAD src0_sel:WORD_1
	v_cvt_f32_f16_sdwa v21, v12 dst_sel:DWORD dst_unused:UNUSED_PAD src0_sel:WORD_1
	v_cvt_f32_f16_e32 v22, v16
	v_cvt_f32_f16_sdwa v23, v16 dst_sel:DWORD dst_unused:UNUSED_PAD src0_sel:WORD_1
	v_pk_mul_f32 v[4:5], v[4:5], v[18:19]
	v_add_f32_e32 v4, v6, v4
	v_cvt_f32_f16_e32 v12, v13
	v_cvt_f32_f16_sdwa v13, v13 dst_sel:DWORD dst_unused:UNUSED_PAD src0_sel:WORD_1
	v_cvt_f32_f16_e32 v16, v17
	v_cvt_f32_f16_sdwa v17, v17 dst_sel:DWORD dst_unused:UNUSED_PAD src0_sel:WORD_1
	v_pk_mul_f32 v[10:11], v[10:11], v[14:15]
	v_add_f32_e32 v4, v4, v5
	v_add_f32_e32 v4, v4, v10
	v_pk_mul_f32 v[14:15], v[20:21], v[22:23]
	v_add_f32_e32 v4, v4, v11
	v_add_f32_e32 v4, v4, v14
	;; [unrolled: 1-line block ×3, first 2 shown]
	v_pk_mul_f32 v[4:5], v[12:13], v[16:17]
	v_add_f32_e32 v4, v6, v4
	v_add_f32_e32 v6, v4, v5
	s_branch .LBB8_3
.LBB8_8:
                                        ; implicit-def: $vgpr6
	s_cbranch_execnz .LBB8_15
	s_branch .LBB8_16
.LBB8_9:
	s_mov_b32 s3, 0
	v_mov_b32_e32 v6, 0
.LBB8_10:
	s_bitcmp0_b32 s15, 3
	s_cbranch_scc1 .LBB8_14
; %bb.11:
	s_mul_i32 s0, s3, s4
	v_add_u32_e32 v2, s0, v1
	v_cmp_gt_u32_e32 vcc, s2, v2
	s_and_saveexec_b64 s[0:1], vcc
	s_cbranch_execz .LBB8_13
; %bb.12:
	v_mov_b32_e32 v3, 0
	v_lshlrev_b64 v[4:5], 4, v[2:3]
	v_mov_b32_e32 v9, s11
	v_add_co_u32_e32 v4, vcc, s10, v4
	v_add_u32_e32 v2, v2, v8
	v_addc_co_u32_e32 v5, vcc, v9, v5, vcc
	v_lshlrev_b64 v[2:3], 4, v[2:3]
	global_load_dwordx4 v[10:13], v[4:5], off
	v_mov_b32_e32 v4, s9
	v_add_co_u32_e32 v2, vcc, s8, v2
	v_addc_co_u32_e32 v3, vcc, v4, v3, vcc
	global_load_dwordx4 v[2:5], v[2:3], off
	s_waitcnt vmcnt(1)
	v_cvt_f32_f16_e32 v8, v10
	v_cvt_f32_f16_sdwa v9, v10 dst_sel:DWORD dst_unused:UNUSED_PAD src0_sel:WORD_1
	v_cvt_f32_f16_e32 v10, v11
	v_cvt_f32_f16_sdwa v11, v11 dst_sel:DWORD dst_unused:UNUSED_PAD src0_sel:WORD_1
	v_cvt_f32_f16_e32 v14, v12
	v_cvt_f32_f16_sdwa v15, v12 dst_sel:DWORD dst_unused:UNUSED_PAD src0_sel:WORD_1
	s_waitcnt vmcnt(0)
	v_cvt_f32_f16_e32 v16, v2
	v_cvt_f32_f16_sdwa v17, v2 dst_sel:DWORD dst_unused:UNUSED_PAD src0_sel:WORD_1
	v_cvt_f32_f16_e32 v2, v3
	v_cvt_f32_f16_sdwa v3, v3 dst_sel:DWORD dst_unused:UNUSED_PAD src0_sel:WORD_1
	;; [unrolled: 2-line block ×3, first 2 shown]
	v_pk_mul_f32 v[8:9], v[8:9], v[16:17]
	v_add_f32_e32 v6, v6, v8
	v_cvt_f32_f16_e32 v12, v13
	v_cvt_f32_f16_sdwa v13, v13 dst_sel:DWORD dst_unused:UNUSED_PAD src0_sel:WORD_1
	v_cvt_f32_f16_e32 v4, v5
	v_cvt_f32_f16_sdwa v5, v5 dst_sel:DWORD dst_unused:UNUSED_PAD src0_sel:WORD_1
	v_pk_mul_f32 v[2:3], v[10:11], v[2:3]
	v_add_f32_e32 v6, v6, v9
	v_add_f32_e32 v2, v6, v2
	v_pk_mul_f32 v[10:11], v[14:15], v[18:19]
	v_add_f32_e32 v2, v2, v3
	v_add_f32_e32 v2, v2, v10
	;; [unrolled: 1-line block ×3, first 2 shown]
	v_pk_mul_f32 v[2:3], v[12:13], v[4:5]
	v_add_f32_e32 v2, v6, v2
	v_add_f32_e32 v6, v2, v3
.LBB8_13:
	s_or_b64 exec, exec, s[0:1]
.LBB8_14:
	s_branch .LBB8_16
.LBB8_15:
	v_mov_b32_e32 v6, 0
.LBB8_16:
	s_cmp_gt_u32 s4, 63
	s_cselect_b64 s[0:1], -1, 0
	s_cmp_lt_u32 s4, 64
	s_cbranch_scc0 .LBB8_37
; %bb.17:
	s_cmp_lt_u32 s4, 32
	s_cbranch_scc0 .LBB8_38
.LBB8_18:
	s_cmp_lt_u32 s4, 16
	s_cbranch_scc0 .LBB8_39
.LBB8_19:
	s_cmp_lt_u32 s4, 8
	s_cbranch_scc0 .LBB8_40
.LBB8_20:
	s_cmp_lt_u32 s4, 4
	s_cbranch_scc0 .LBB8_41
.LBB8_21:
	s_cmp_lt_u32 s4, 2
	s_cbranch_scc0 .LBB8_42
.LBB8_22:
	s_cmp_gt_u32 s4, 32
	s_cbranch_scc0 .LBB8_43
.LBB8_23:
	v_and_b32_e32 v3, 31, v1
	v_cmp_eq_u32_e32 vcc, 0, v3
	s_and_saveexec_b64 s[2:3], vcc
	s_cbranch_execz .LBB8_25
; %bb.24:
	v_lshrrev_b32_e32 v2, 3, v1
	v_lshl_or_b32 v2, v7, 7, v2
	ds_write_b32 v2, v6
.LBB8_25:
	s_or_b64 exec, exec, s[2:3]
	s_bfe_u32 s2, s4, 0x100005
	v_cmp_gt_u32_e32 vcc, s2, v1
	v_mov_b32_e32 v2, 0
	s_waitcnt lgkmcnt(0)
	s_barrier
	s_and_saveexec_b64 s[2:3], vcc
	s_cbranch_execz .LBB8_27
; %bb.26:
	v_lshlrev_b32_e32 v2, 2, v3
	v_lshl_or_b32 v2, v7, 7, v2
	ds_read_b32 v2, v2
.LBB8_27:
	s_or_b64 exec, exec, s[2:3]
	v_cmp_gt_u32_e32 vcc, 32, v1
	s_and_saveexec_b64 s[2:3], vcc
	s_cbranch_execz .LBB8_35
; %bb.28:
	s_cmpk_lt_u32 s4, 0x800
	v_mbcnt_lo_u32_b32 v3, -1, 0
	s_cbranch_scc0 .LBB8_47
; %bb.29:
	s_cmpk_lt_u32 s4, 0x400
	s_cbranch_scc0 .LBB8_48
.LBB8_30:
	s_cmpk_lt_u32 s4, 0x200
	s_cbranch_scc0 .LBB8_49
.LBB8_31:
	s_cmpk_lt_u32 s4, 0x100
	s_cbranch_scc0 .LBB8_50
.LBB8_32:
	s_cmpk_lt_u32 s4, 0x80
	s_cbranch_scc0 .LBB8_51
.LBB8_33:
	s_andn2_b64 vcc, exec, s[0:1]
	s_cbranch_vccnz .LBB8_35
.LBB8_34:
	v_mbcnt_hi_u32_b32 v3, -1, v3
	v_and_b32_e32 v4, 63, v3
	v_cmp_ne_u32_e32 vcc, 63, v4
	v_addc_co_u32_e32 v3, vcc, 0, v3, vcc
	v_lshlrev_b32_e32 v3, 2, v3
	s_waitcnt lgkmcnt(0)
	ds_bpermute_b32 v3, v3, v2
	s_waitcnt lgkmcnt(0)
	v_add_f32_e32 v2, v2, v3
.LBB8_35:
	s_or_b64 exec, exec, s[2:3]
	v_cmp_eq_u32_e64 s[0:1], 0, v1
.LBB8_36:
	s_waitcnt lgkmcnt(0)
	v_mov_b32_e32 v6, v2
	s_and_saveexec_b64 s[2:3], s[0:1]
	s_cbranch_execnz .LBB8_45
	s_branch .LBB8_46
.LBB8_37:
	v_mbcnt_lo_u32_b32 v2, -1, 0
	v_mbcnt_hi_u32_b32 v2, -1, v2
	v_mov_b32_e32 v3, 0x80
	v_lshl_or_b32 v2, v2, 2, v3
	ds_bpermute_b32 v2, v2, v6
	s_waitcnt lgkmcnt(0)
	v_add_f32_e32 v6, v6, v2
	s_cmp_lt_u32 s4, 32
	s_cbranch_scc1 .LBB8_18
.LBB8_38:
	v_mbcnt_lo_u32_b32 v2, -1, 0
	v_mbcnt_hi_u32_b32 v2, -1, v2
	v_and_b32_e32 v3, 48, v2
	v_cmp_ne_u32_e32 vcc, 48, v3
	v_cndmask_b32_e64 v3, 0, 1, vcc
	v_lshlrev_b32_e32 v3, 4, v3
	v_add_lshl_u32 v2, v3, v2, 2
	ds_bpermute_b32 v2, v2, v6
	s_waitcnt lgkmcnt(0)
	v_add_f32_e32 v6, v6, v2
	s_cmp_lt_u32 s4, 16
	s_cbranch_scc1 .LBB8_19
.LBB8_39:
	v_mbcnt_lo_u32_b32 v2, -1, 0
	v_mbcnt_hi_u32_b32 v2, -1, v2
	v_and_b32_e32 v3, 56, v2
	v_cmp_ne_u32_e32 vcc, 56, v3
	v_cndmask_b32_e64 v3, 0, 1, vcc
	v_lshlrev_b32_e32 v3, 3, v3
	v_add_lshl_u32 v2, v3, v2, 2
	ds_bpermute_b32 v2, v2, v6
	s_waitcnt lgkmcnt(0)
	v_add_f32_e32 v6, v6, v2
	s_cmp_lt_u32 s4, 8
	s_cbranch_scc1 .LBB8_20
.LBB8_40:
	v_mbcnt_lo_u32_b32 v2, -1, 0
	v_mbcnt_hi_u32_b32 v2, -1, v2
	v_and_b32_e32 v3, 60, v2
	v_cmp_ne_u32_e32 vcc, 60, v3
	v_cndmask_b32_e64 v3, 0, 1, vcc
	v_lshlrev_b32_e32 v3, 2, v3
	v_add_lshl_u32 v2, v3, v2, 2
	ds_bpermute_b32 v2, v2, v6
	s_waitcnt lgkmcnt(0)
	v_add_f32_e32 v6, v6, v2
	s_cmp_lt_u32 s4, 4
	s_cbranch_scc1 .LBB8_21
.LBB8_41:
	v_mbcnt_lo_u32_b32 v2, -1, 0
	v_mbcnt_hi_u32_b32 v2, -1, v2
	v_and_b32_e32 v3, 62, v2
	v_cmp_ne_u32_e32 vcc, 62, v3
	v_cndmask_b32_e64 v3, 0, 1, vcc
	v_lshlrev_b32_e32 v3, 1, v3
	v_add_lshl_u32 v2, v3, v2, 2
	ds_bpermute_b32 v2, v2, v6
	s_waitcnt lgkmcnt(0)
	v_add_f32_e32 v6, v6, v2
	s_cmp_lt_u32 s4, 2
	s_cbranch_scc1 .LBB8_22
.LBB8_42:
	v_mbcnt_lo_u32_b32 v2, -1, 0
	v_mbcnt_hi_u32_b32 v2, -1, v2
	v_and_b32_e32 v3, 63, v2
	v_cmp_ne_u32_e32 vcc, 63, v3
	v_addc_co_u32_e32 v2, vcc, 0, v2, vcc
	v_lshlrev_b32_e32 v2, 2, v2
	ds_bpermute_b32 v2, v2, v6
	s_waitcnt lgkmcnt(0)
	v_add_f32_e32 v6, v6, v2
	s_cmp_gt_u32 s4, 32
	s_cbranch_scc1 .LBB8_23
.LBB8_43:
	s_mov_b64 s[0:1], 0
                                        ; implicit-def: $vgpr2
	s_cbranch_execz .LBB8_36
; %bb.44:
	v_cmp_eq_u32_e32 vcc, 0, v1
	s_andn2_b64 s[0:1], s[0:1], exec
	s_and_b64 s[2:3], vcc, exec
	s_or_b64 s[0:1], s[0:1], s[2:3]
	s_and_saveexec_b64 s[2:3], s[0:1]
	s_cbranch_execz .LBB8_46
.LBB8_45:
	v_mov_b32_e32 v1, 0
	v_cvt_f16_f32_e32 v3, v6
	v_lshlrev_b64 v[0:1], 1, v[0:1]
	s_waitcnt lgkmcnt(0)
	v_mov_b32_e32 v2, s13
	v_add_co_u32_e32 v0, vcc, s12, v0
	v_addc_co_u32_e32 v1, vcc, v2, v1, vcc
	global_store_short v[0:1], v3, off
.LBB8_46:
	s_endpgm
.LBB8_47:
	v_mbcnt_hi_u32_b32 v4, -1, v3
	v_mov_b32_e32 v5, 0x80
	v_lshl_or_b32 v4, v4, 2, v5
	s_waitcnt lgkmcnt(0)
	ds_bpermute_b32 v4, v4, v2
	s_waitcnt lgkmcnt(0)
	v_add_f32_e32 v2, v2, v4
	s_cmpk_lt_u32 s4, 0x400
	s_cbranch_scc1 .LBB8_30
.LBB8_48:
	v_mbcnt_hi_u32_b32 v4, -1, v3
	v_and_b32_e32 v5, 48, v4
	v_cmp_ne_u32_e32 vcc, 48, v5
	v_cndmask_b32_e64 v5, 0, 1, vcc
	v_lshlrev_b32_e32 v5, 4, v5
	v_add_lshl_u32 v4, v5, v4, 2
	s_waitcnt lgkmcnt(0)
	ds_bpermute_b32 v4, v4, v2
	s_waitcnt lgkmcnt(0)
	v_add_f32_e32 v2, v2, v4
	s_cmpk_lt_u32 s4, 0x200
	s_cbranch_scc1 .LBB8_31
.LBB8_49:
	v_mbcnt_hi_u32_b32 v4, -1, v3
	v_and_b32_e32 v5, 56, v4
	v_cmp_ne_u32_e32 vcc, 56, v5
	v_cndmask_b32_e64 v5, 0, 1, vcc
	v_lshlrev_b32_e32 v5, 3, v5
	v_add_lshl_u32 v4, v5, v4, 2
	s_waitcnt lgkmcnt(0)
	ds_bpermute_b32 v4, v4, v2
	s_waitcnt lgkmcnt(0)
	v_add_f32_e32 v2, v2, v4
	s_cmpk_lt_u32 s4, 0x100
	s_cbranch_scc1 .LBB8_32
.LBB8_50:
	v_mbcnt_hi_u32_b32 v4, -1, v3
	v_and_b32_e32 v5, 60, v4
	v_cmp_ne_u32_e32 vcc, 60, v5
	v_cndmask_b32_e64 v5, 0, 1, vcc
	v_lshlrev_b32_e32 v5, 2, v5
	v_add_lshl_u32 v4, v5, v4, 2
	s_waitcnt lgkmcnt(0)
	ds_bpermute_b32 v4, v4, v2
	s_waitcnt lgkmcnt(0)
	v_add_f32_e32 v2, v2, v4
	s_cmpk_lt_u32 s4, 0x80
	s_cbranch_scc1 .LBB8_33
.LBB8_51:
	v_mbcnt_hi_u32_b32 v4, -1, v3
	v_and_b32_e32 v5, 62, v4
	v_cmp_ne_u32_e32 vcc, 62, v5
	v_cndmask_b32_e64 v5, 0, 1, vcc
	v_lshlrev_b32_e32 v5, 1, v5
	v_add_lshl_u32 v4, v5, v4, 2
	s_waitcnt lgkmcnt(0)
	ds_bpermute_b32 v4, v4, v2
	s_waitcnt lgkmcnt(0)
	v_add_f32_e32 v2, v2, v4
	s_andn2_b64 vcc, exec, s[0:1]
	s_cbranch_vccz .LBB8_34
	s_branch .LBB8_35
	.section	.rodata,"a",@progbits
	.p2align	6, 0x0
	.amdhsa_kernel _Z9gemv_fp16ILj32EEvP6__halfS1_S1_jj
		.amdhsa_group_segment_fixed_size 8192
		.amdhsa_private_segment_fixed_size 0
		.amdhsa_kernarg_size 288
		.amdhsa_user_sgpr_count 6
		.amdhsa_user_sgpr_private_segment_buffer 1
		.amdhsa_user_sgpr_dispatch_ptr 0
		.amdhsa_user_sgpr_queue_ptr 0
		.amdhsa_user_sgpr_kernarg_segment_ptr 1
		.amdhsa_user_sgpr_dispatch_id 0
		.amdhsa_user_sgpr_flat_scratch_init 0
		.amdhsa_user_sgpr_kernarg_preload_length 0
		.amdhsa_user_sgpr_kernarg_preload_offset 0
		.amdhsa_user_sgpr_private_segment_size 0
		.amdhsa_uses_dynamic_stack 0
		.amdhsa_system_sgpr_private_segment_wavefront_offset 0
		.amdhsa_system_sgpr_workgroup_id_x 1
		.amdhsa_system_sgpr_workgroup_id_y 1
		.amdhsa_system_sgpr_workgroup_id_z 0
		.amdhsa_system_sgpr_workgroup_info 0
		.amdhsa_system_vgpr_workitem_id 1
		.amdhsa_next_free_vgpr 24
		.amdhsa_next_free_sgpr 16
		.amdhsa_accum_offset 24
		.amdhsa_reserve_vcc 1
		.amdhsa_reserve_flat_scratch 0
		.amdhsa_float_round_mode_32 0
		.amdhsa_float_round_mode_16_64 0
		.amdhsa_float_denorm_mode_32 3
		.amdhsa_float_denorm_mode_16_64 3
		.amdhsa_dx10_clamp 1
		.amdhsa_ieee_mode 1
		.amdhsa_fp16_overflow 0
		.amdhsa_tg_split 0
		.amdhsa_exception_fp_ieee_invalid_op 0
		.amdhsa_exception_fp_denorm_src 0
		.amdhsa_exception_fp_ieee_div_zero 0
		.amdhsa_exception_fp_ieee_overflow 0
		.amdhsa_exception_fp_ieee_underflow 0
		.amdhsa_exception_fp_ieee_inexact 0
		.amdhsa_exception_int_div_zero 0
	.end_amdhsa_kernel
	.section	.text._Z9gemv_fp16ILj32EEvP6__halfS1_S1_jj,"axG",@progbits,_Z9gemv_fp16ILj32EEvP6__halfS1_S1_jj,comdat
.Lfunc_end8:
	.size	_Z9gemv_fp16ILj32EEvP6__halfS1_S1_jj, .Lfunc_end8-_Z9gemv_fp16ILj32EEvP6__halfS1_S1_jj
                                        ; -- End function
	.section	.AMDGPU.csdata,"",@progbits
; Kernel info:
; codeLenInByte = 2012
; NumSgprs: 20
; NumVgprs: 24
; NumAgprs: 0
; TotalNumVgprs: 24
; ScratchSize: 0
; MemoryBound: 0
; FloatMode: 240
; IeeeMode: 1
; LDSByteSize: 8192 bytes/workgroup (compile time only)
; SGPRBlocks: 2
; VGPRBlocks: 2
; NumSGPRsForWavesPerEU: 20
; NumVGPRsForWavesPerEU: 24
; AccumOffset: 24
; Occupancy: 8
; WaveLimiterHint : 0
; COMPUTE_PGM_RSRC2:SCRATCH_EN: 0
; COMPUTE_PGM_RSRC2:USER_SGPR: 6
; COMPUTE_PGM_RSRC2:TRAP_HANDLER: 0
; COMPUTE_PGM_RSRC2:TGID_X_EN: 1
; COMPUTE_PGM_RSRC2:TGID_Y_EN: 1
; COMPUTE_PGM_RSRC2:TGID_Z_EN: 0
; COMPUTE_PGM_RSRC2:TIDIG_COMP_CNT: 1
; COMPUTE_PGM_RSRC3_GFX90A:ACCUM_OFFSET: 5
; COMPUTE_PGM_RSRC3_GFX90A:TG_SPLIT: 0
	.text
	.p2alignl 6, 3212836864
	.fill 256, 4, 3212836864
	.type	.str,@object                    ; @.str
	.section	.rodata.str1.1,"aMS",@progbits,1
.str:
	.asciz	"!!![idx=%d] %f != %f, diff=%f\n"
	.size	.str, 31

	.type	__hip_cuid_5dcabc169f380654,@object ; @__hip_cuid_5dcabc169f380654
	.section	.bss,"aw",@nobits
	.globl	__hip_cuid_5dcabc169f380654
__hip_cuid_5dcabc169f380654:
	.byte	0                               ; 0x0
	.size	__hip_cuid_5dcabc169f380654, 1

	.ident	"AMD clang version 19.0.0git (https://github.com/RadeonOpenCompute/llvm-project roc-6.4.0 25133 c7fe45cf4b819c5991fe208aaa96edf142730f1d)"
	.section	".note.GNU-stack","",@progbits
	.addrsig
	.addrsig_sym __hip_cuid_5dcabc169f380654
	.amdgpu_metadata
---
amdhsa.kernels:
  - .agpr_count:     0
    .args:
      - .address_space:  global
        .offset:         0
        .size:           8
        .value_kind:     global_buffer
      - .address_space:  global
        .offset:         8
        .size:           8
        .value_kind:     global_buffer
      - .address_space:  global
        .offset:         16
        .size:           8
        .value_kind:     global_buffer
      - .offset:         24
        .size:           4
        .value_kind:     by_value
      - .offset:         32
        .size:           4
        .value_kind:     hidden_block_count_x
      - .offset:         36
        .size:           4
        .value_kind:     hidden_block_count_y
      - .offset:         40
        .size:           4
        .value_kind:     hidden_block_count_z
      - .offset:         44
        .size:           2
        .value_kind:     hidden_group_size_x
      - .offset:         46
        .size:           2
        .value_kind:     hidden_group_size_y
      - .offset:         48
        .size:           2
        .value_kind:     hidden_group_size_z
      - .offset:         50
        .size:           2
        .value_kind:     hidden_remainder_x
      - .offset:         52
        .size:           2
        .value_kind:     hidden_remainder_y
      - .offset:         54
        .size:           2
        .value_kind:     hidden_remainder_z
      - .offset:         72
        .size:           8
        .value_kind:     hidden_global_offset_x
      - .offset:         80
        .size:           8
        .value_kind:     hidden_global_offset_y
      - .offset:         88
        .size:           8
        .value_kind:     hidden_global_offset_z
      - .offset:         96
        .size:           2
        .value_kind:     hidden_grid_dims
      - .offset:         112
        .size:           8
        .value_kind:     hidden_hostcall_buffer
    .group_segment_fixed_size: 0
    .kernarg_segment_align: 8
    .kernarg_segment_size: 288
    .language:       OpenCL C
    .language_version:
      - 2
      - 0
    .max_flat_workgroup_size: 1024
    .name:           _Z17check_correctnessP6__halfS0_S0_i
    .private_segment_fixed_size: 0
    .sgpr_count:     23
    .sgpr_spill_count: 0
    .symbol:         _Z17check_correctnessP6__halfS0_S0_i.kd
    .uniform_work_group_size: 1
    .uses_dynamic_stack: false
    .vgpr_count:     39
    .vgpr_spill_count: 0
    .wavefront_size: 64
  - .agpr_count:     0
    .args:
      - .address_space:  global
        .offset:         0
        .size:           8
        .value_kind:     global_buffer
      - .address_space:  global
        .offset:         8
        .size:           8
        .value_kind:     global_buffer
      - .address_space:  global
        .offset:         16
        .size:           8
        .value_kind:     global_buffer
      - .offset:         24
        .size:           2
        .value_kind:     by_value
      - .offset:         26
        .size:           2
        .value_kind:     by_value
      - .offset:         28
        .size:           4
        .value_kind:     by_value
      - .offset:         32
        .size:           4
        .value_kind:     hidden_block_count_x
      - .offset:         36
        .size:           4
        .value_kind:     hidden_block_count_y
      - .offset:         40
        .size:           4
        .value_kind:     hidden_block_count_z
      - .offset:         44
        .size:           2
        .value_kind:     hidden_group_size_x
      - .offset:         46
        .size:           2
        .value_kind:     hidden_group_size_y
      - .offset:         48
        .size:           2
        .value_kind:     hidden_group_size_z
      - .offset:         50
        .size:           2
        .value_kind:     hidden_remainder_x
      - .offset:         52
        .size:           2
        .value_kind:     hidden_remainder_y
      - .offset:         54
        .size:           2
        .value_kind:     hidden_remainder_z
      - .offset:         72
        .size:           8
        .value_kind:     hidden_global_offset_x
      - .offset:         80
        .size:           8
        .value_kind:     hidden_global_offset_y
      - .offset:         88
        .size:           8
        .value_kind:     hidden_global_offset_z
      - .offset:         96
        .size:           2
        .value_kind:     hidden_grid_dims
      - .offset:         112
        .size:           8
        .value_kind:     hidden_hostcall_buffer
    .group_segment_fixed_size: 0
    .kernarg_segment_align: 8
    .kernarg_segment_size: 288
    .language:       OpenCL C
    .language_version:
      - 2
      - 0
    .max_flat_workgroup_size: 1024
    .name:           _Z32check_int8_quantized_correctnessPaP6__halfS1_S0_S0_i
    .private_segment_fixed_size: 0
    .sgpr_count:     23
    .sgpr_spill_count: 0
    .symbol:         _Z32check_int8_quantized_correctnessPaP6__halfS1_S0_S0_i.kd
    .uniform_work_group_size: 1
    .uses_dynamic_stack: false
    .vgpr_count:     39
    .vgpr_spill_count: 0
    .wavefront_size: 64
  - .agpr_count:     0
    .args:
      - .address_space:  global
        .offset:         0
        .size:           8
        .value_kind:     global_buffer
      - .address_space:  global
        .offset:         8
        .size:           8
        .value_kind:     global_buffer
      - .address_space:  global
        .offset:         16
        .size:           8
        .value_kind:     global_buffer
      - .offset:         24
        .size:           2
        .value_kind:     by_value
      - .offset:         26
        .size:           2
        .value_kind:     by_value
      - .offset:         28
        .size:           4
        .value_kind:     by_value
      - .offset:         32
        .size:           4
        .value_kind:     hidden_block_count_x
      - .offset:         36
        .size:           4
        .value_kind:     hidden_block_count_y
      - .offset:         40
        .size:           4
        .value_kind:     hidden_block_count_z
      - .offset:         44
        .size:           2
        .value_kind:     hidden_group_size_x
      - .offset:         46
        .size:           2
        .value_kind:     hidden_group_size_y
      - .offset:         48
        .size:           2
        .value_kind:     hidden_group_size_z
      - .offset:         50
        .size:           2
        .value_kind:     hidden_remainder_x
      - .offset:         52
        .size:           2
        .value_kind:     hidden_remainder_y
      - .offset:         54
        .size:           2
        .value_kind:     hidden_remainder_z
      - .offset:         72
        .size:           8
        .value_kind:     hidden_global_offset_x
      - .offset:         80
        .size:           8
        .value_kind:     hidden_global_offset_y
      - .offset:         88
        .size:           8
        .value_kind:     hidden_global_offset_z
      - .offset:         96
        .size:           2
        .value_kind:     hidden_grid_dims
      - .offset:         112
        .size:           8
        .value_kind:     hidden_hostcall_buffer
    .group_segment_fixed_size: 0
    .kernarg_segment_align: 8
    .kernarg_segment_size: 288
    .language:       OpenCL C
    .language_version:
      - 2
      - 0
    .max_flat_workgroup_size: 1024
    .name:           _Z32check_int4_quantized_correctnessP7uint4_2P6__halfS2_S1_S1_i
    .private_segment_fixed_size: 0
    .sgpr_count:     23
    .sgpr_spill_count: 0
    .symbol:         _Z32check_int4_quantized_correctnessP7uint4_2P6__halfS2_S1_S1_i.kd
    .uniform_work_group_size: 1
    .uses_dynamic_stack: false
    .vgpr_count:     39
    .vgpr_spill_count: 0
    .wavefront_size: 64
  - .agpr_count:     0
    .args:
      - .address_space:  global
        .offset:         0
        .size:           8
        .value_kind:     global_buffer
      - .address_space:  global
        .offset:         8
        .size:           8
        .value_kind:     global_buffer
      - .address_space:  global
        .offset:         16
        .size:           8
        .value_kind:     global_buffer
      - .offset:         24
        .size:           4
        .value_kind:     by_value
      - .offset:         28
        .size:           2
        .value_kind:     by_value
      - .offset:         30
        .size:           2
        .value_kind:     by_value
      - .offset:         32
        .size:           4
        .value_kind:     by_value
      - .offset:         40
        .size:           4
        .value_kind:     hidden_block_count_x
      - .offset:         44
        .size:           4
        .value_kind:     hidden_block_count_y
      - .offset:         48
        .size:           4
        .value_kind:     hidden_block_count_z
      - .offset:         52
        .size:           2
        .value_kind:     hidden_group_size_x
      - .offset:         54
        .size:           2
        .value_kind:     hidden_group_size_y
      - .offset:         56
        .size:           2
        .value_kind:     hidden_group_size_z
      - .offset:         58
        .size:           2
        .value_kind:     hidden_remainder_x
      - .offset:         60
        .size:           2
        .value_kind:     hidden_remainder_y
      - .offset:         62
        .size:           2
        .value_kind:     hidden_remainder_z
      - .offset:         80
        .size:           8
        .value_kind:     hidden_global_offset_x
      - .offset:         88
        .size:           8
        .value_kind:     hidden_global_offset_y
      - .offset:         96
        .size:           8
        .value_kind:     hidden_global_offset_z
      - .offset:         104
        .size:           2
        .value_kind:     hidden_grid_dims
    .group_segment_fixed_size: 16384
    .kernarg_segment_align: 8
    .kernarg_segment_size: 296
    .language:       OpenCL C
    .language_version:
      - 2
      - 0
    .max_flat_workgroup_size: 1024
    .name:           _Z19gemv_quantized_int4ILj64EEvP7uint4_2P6__halfS3_jS2_S2_j
    .private_segment_fixed_size: 0
    .sgpr_count:     17
    .sgpr_spill_count: 0
    .symbol:         _Z19gemv_quantized_int4ILj64EEvP7uint4_2P6__halfS3_jS2_S2_j.kd
    .uniform_work_group_size: 1
    .uses_dynamic_stack: false
    .vgpr_count:     33
    .vgpr_spill_count: 0
    .wavefront_size: 64
  - .agpr_count:     0
    .args:
      - .address_space:  global
        .offset:         0
        .size:           8
        .value_kind:     global_buffer
      - .address_space:  global
        .offset:         8
        .size:           8
        .value_kind:     global_buffer
      - .address_space:  global
        .offset:         16
        .size:           8
        .value_kind:     global_buffer
      - .offset:         24
        .size:           4
        .value_kind:     by_value
      - .offset:         28
        .size:           2
        .value_kind:     by_value
      - .offset:         30
        .size:           2
        .value_kind:     by_value
      - .offset:         32
        .size:           4
        .value_kind:     by_value
      - .offset:         40
        .size:           4
        .value_kind:     hidden_block_count_x
      - .offset:         44
        .size:           4
        .value_kind:     hidden_block_count_y
      - .offset:         48
        .size:           4
        .value_kind:     hidden_block_count_z
      - .offset:         52
        .size:           2
        .value_kind:     hidden_group_size_x
      - .offset:         54
        .size:           2
        .value_kind:     hidden_group_size_y
      - .offset:         56
        .size:           2
        .value_kind:     hidden_group_size_z
      - .offset:         58
        .size:           2
        .value_kind:     hidden_remainder_x
      - .offset:         60
        .size:           2
        .value_kind:     hidden_remainder_y
      - .offset:         62
        .size:           2
        .value_kind:     hidden_remainder_z
      - .offset:         80
        .size:           8
        .value_kind:     hidden_global_offset_x
      - .offset:         88
        .size:           8
        .value_kind:     hidden_global_offset_y
      - .offset:         96
        .size:           8
        .value_kind:     hidden_global_offset_z
      - .offset:         104
        .size:           2
        .value_kind:     hidden_grid_dims
    .group_segment_fixed_size: 8192
    .kernarg_segment_align: 8
    .kernarg_segment_size: 296
    .language:       OpenCL C
    .language_version:
      - 2
      - 0
    .max_flat_workgroup_size: 1024
    .name:           _Z19gemv_quantized_int4ILj32EEvP7uint4_2P6__halfS3_jS2_S2_j
    .private_segment_fixed_size: 0
    .sgpr_count:     17
    .sgpr_spill_count: 0
    .symbol:         _Z19gemv_quantized_int4ILj32EEvP7uint4_2P6__halfS3_jS2_S2_j.kd
    .uniform_work_group_size: 1
    .uses_dynamic_stack: false
    .vgpr_count:     33
    .vgpr_spill_count: 0
    .wavefront_size: 64
  - .agpr_count:     0
    .args:
      - .address_space:  global
        .offset:         0
        .size:           8
        .value_kind:     global_buffer
      - .address_space:  global
        .offset:         8
        .size:           8
        .value_kind:     global_buffer
      - .address_space:  global
        .offset:         16
        .size:           8
        .value_kind:     global_buffer
      - .offset:         24
        .size:           4
        .value_kind:     by_value
      - .offset:         28
        .size:           2
        .value_kind:     by_value
      - .offset:         30
        .size:           2
        .value_kind:     by_value
      - .offset:         32
        .size:           4
        .value_kind:     by_value
      - .offset:         40
        .size:           4
        .value_kind:     hidden_block_count_x
      - .offset:         44
        .size:           4
        .value_kind:     hidden_block_count_y
      - .offset:         48
        .size:           4
        .value_kind:     hidden_block_count_z
      - .offset:         52
        .size:           2
        .value_kind:     hidden_group_size_x
      - .offset:         54
        .size:           2
        .value_kind:     hidden_group_size_y
      - .offset:         56
        .size:           2
        .value_kind:     hidden_group_size_z
      - .offset:         58
        .size:           2
        .value_kind:     hidden_remainder_x
      - .offset:         60
        .size:           2
        .value_kind:     hidden_remainder_y
      - .offset:         62
        .size:           2
        .value_kind:     hidden_remainder_z
      - .offset:         80
        .size:           8
        .value_kind:     hidden_global_offset_x
      - .offset:         88
        .size:           8
        .value_kind:     hidden_global_offset_y
      - .offset:         96
        .size:           8
        .value_kind:     hidden_global_offset_z
      - .offset:         104
        .size:           2
        .value_kind:     hidden_grid_dims
    .group_segment_fixed_size: 16384
    .kernarg_segment_align: 8
    .kernarg_segment_size: 296
    .language:       OpenCL C
    .language_version:
      - 2
      - 0
    .max_flat_workgroup_size: 1024
    .name:           _Z19gemv_quantized_int8ILj64EEvPaP6__halfS2_jS1_S1_j
    .private_segment_fixed_size: 0
    .sgpr_count:     19
    .sgpr_spill_count: 0
    .symbol:         _Z19gemv_quantized_int8ILj64EEvPaP6__halfS2_jS1_S1_j.kd
    .uniform_work_group_size: 1
    .uses_dynamic_stack: false
    .vgpr_count:     30
    .vgpr_spill_count: 0
    .wavefront_size: 64
  - .agpr_count:     0
    .args:
      - .address_space:  global
        .offset:         0
        .size:           8
        .value_kind:     global_buffer
      - .address_space:  global
        .offset:         8
        .size:           8
        .value_kind:     global_buffer
      - .address_space:  global
        .offset:         16
        .size:           8
        .value_kind:     global_buffer
      - .offset:         24
        .size:           4
        .value_kind:     by_value
      - .offset:         28
        .size:           2
        .value_kind:     by_value
      - .offset:         30
        .size:           2
        .value_kind:     by_value
      - .offset:         32
        .size:           4
        .value_kind:     by_value
      - .offset:         40
        .size:           4
        .value_kind:     hidden_block_count_x
      - .offset:         44
        .size:           4
        .value_kind:     hidden_block_count_y
      - .offset:         48
        .size:           4
        .value_kind:     hidden_block_count_z
      - .offset:         52
        .size:           2
        .value_kind:     hidden_group_size_x
      - .offset:         54
        .size:           2
        .value_kind:     hidden_group_size_y
      - .offset:         56
        .size:           2
        .value_kind:     hidden_group_size_z
      - .offset:         58
        .size:           2
        .value_kind:     hidden_remainder_x
      - .offset:         60
        .size:           2
        .value_kind:     hidden_remainder_y
      - .offset:         62
        .size:           2
        .value_kind:     hidden_remainder_z
      - .offset:         80
        .size:           8
        .value_kind:     hidden_global_offset_x
      - .offset:         88
        .size:           8
        .value_kind:     hidden_global_offset_y
      - .offset:         96
        .size:           8
        .value_kind:     hidden_global_offset_z
      - .offset:         104
        .size:           2
        .value_kind:     hidden_grid_dims
    .group_segment_fixed_size: 8192
    .kernarg_segment_align: 8
    .kernarg_segment_size: 296
    .language:       OpenCL C
    .language_version:
      - 2
      - 0
    .max_flat_workgroup_size: 1024
    .name:           _Z19gemv_quantized_int8ILj32EEvPaP6__halfS2_jS1_S1_j
    .private_segment_fixed_size: 0
    .sgpr_count:     19
    .sgpr_spill_count: 0
    .symbol:         _Z19gemv_quantized_int8ILj32EEvPaP6__halfS2_jS1_S1_j.kd
    .uniform_work_group_size: 1
    .uses_dynamic_stack: false
    .vgpr_count:     30
    .vgpr_spill_count: 0
    .wavefront_size: 64
  - .agpr_count:     0
    .args:
      - .address_space:  global
        .offset:         0
        .size:           8
        .value_kind:     global_buffer
      - .address_space:  global
        .offset:         8
        .size:           8
        .value_kind:     global_buffer
      - .address_space:  global
        .offset:         16
        .size:           8
        .value_kind:     global_buffer
      - .offset:         24
        .size:           4
        .value_kind:     by_value
      - .offset:         28
        .size:           4
        .value_kind:     by_value
      - .offset:         32
        .size:           4
        .value_kind:     hidden_block_count_x
      - .offset:         36
        .size:           4
        .value_kind:     hidden_block_count_y
      - .offset:         40
        .size:           4
        .value_kind:     hidden_block_count_z
      - .offset:         44
        .size:           2
        .value_kind:     hidden_group_size_x
      - .offset:         46
        .size:           2
        .value_kind:     hidden_group_size_y
      - .offset:         48
        .size:           2
        .value_kind:     hidden_group_size_z
      - .offset:         50
        .size:           2
        .value_kind:     hidden_remainder_x
      - .offset:         52
        .size:           2
        .value_kind:     hidden_remainder_y
      - .offset:         54
        .size:           2
        .value_kind:     hidden_remainder_z
      - .offset:         72
        .size:           8
        .value_kind:     hidden_global_offset_x
      - .offset:         80
        .size:           8
        .value_kind:     hidden_global_offset_y
      - .offset:         88
        .size:           8
        .value_kind:     hidden_global_offset_z
      - .offset:         96
        .size:           2
        .value_kind:     hidden_grid_dims
    .group_segment_fixed_size: 16384
    .kernarg_segment_align: 8
    .kernarg_segment_size: 288
    .language:       OpenCL C
    .language_version:
      - 2
      - 0
    .max_flat_workgroup_size: 1024
    .name:           _Z9gemv_fp16ILj64EEvP6__halfS1_S1_jj
    .private_segment_fixed_size: 0
    .sgpr_count:     20
    .sgpr_spill_count: 0
    .symbol:         _Z9gemv_fp16ILj64EEvP6__halfS1_S1_jj.kd
    .uniform_work_group_size: 1
    .uses_dynamic_stack: false
    .vgpr_count:     24
    .vgpr_spill_count: 0
    .wavefront_size: 64
  - .agpr_count:     0
    .args:
      - .address_space:  global
        .offset:         0
        .size:           8
        .value_kind:     global_buffer
      - .address_space:  global
        .offset:         8
        .size:           8
        .value_kind:     global_buffer
      - .address_space:  global
        .offset:         16
        .size:           8
        .value_kind:     global_buffer
      - .offset:         24
        .size:           4
        .value_kind:     by_value
      - .offset:         28
        .size:           4
        .value_kind:     by_value
      - .offset:         32
        .size:           4
        .value_kind:     hidden_block_count_x
      - .offset:         36
        .size:           4
        .value_kind:     hidden_block_count_y
      - .offset:         40
        .size:           4
        .value_kind:     hidden_block_count_z
      - .offset:         44
        .size:           2
        .value_kind:     hidden_group_size_x
      - .offset:         46
        .size:           2
        .value_kind:     hidden_group_size_y
      - .offset:         48
        .size:           2
        .value_kind:     hidden_group_size_z
      - .offset:         50
        .size:           2
        .value_kind:     hidden_remainder_x
      - .offset:         52
        .size:           2
        .value_kind:     hidden_remainder_y
      - .offset:         54
        .size:           2
        .value_kind:     hidden_remainder_z
      - .offset:         72
        .size:           8
        .value_kind:     hidden_global_offset_x
      - .offset:         80
        .size:           8
        .value_kind:     hidden_global_offset_y
      - .offset:         88
        .size:           8
        .value_kind:     hidden_global_offset_z
      - .offset:         96
        .size:           2
        .value_kind:     hidden_grid_dims
    .group_segment_fixed_size: 8192
    .kernarg_segment_align: 8
    .kernarg_segment_size: 288
    .language:       OpenCL C
    .language_version:
      - 2
      - 0
    .max_flat_workgroup_size: 1024
    .name:           _Z9gemv_fp16ILj32EEvP6__halfS1_S1_jj
    .private_segment_fixed_size: 0
    .sgpr_count:     20
    .sgpr_spill_count: 0
    .symbol:         _Z9gemv_fp16ILj32EEvP6__halfS1_S1_jj.kd
    .uniform_work_group_size: 1
    .uses_dynamic_stack: false
    .vgpr_count:     24
    .vgpr_spill_count: 0
    .wavefront_size: 64
amdhsa.target:   amdgcn-amd-amdhsa--gfx90a
amdhsa.version:
  - 1
  - 2
...

	.end_amdgpu_metadata
